;; amdgpu-corpus repo=ROCm/rocFFT kind=compiled arch=gfx950 opt=O3
	.text
	.amdgcn_target "amdgcn-amd-amdhsa--gfx950"
	.amdhsa_code_object_version 6
	.protected	fft_rtc_fwd_len1980_factors_11_2_3_3_5_2_wgs_198_tpt_198_halfLds_half_ip_CI_unitstride_sbrr_R2C_dirReg ; -- Begin function fft_rtc_fwd_len1980_factors_11_2_3_3_5_2_wgs_198_tpt_198_halfLds_half_ip_CI_unitstride_sbrr_R2C_dirReg
	.globl	fft_rtc_fwd_len1980_factors_11_2_3_3_5_2_wgs_198_tpt_198_halfLds_half_ip_CI_unitstride_sbrr_R2C_dirReg
	.p2align	8
	.type	fft_rtc_fwd_len1980_factors_11_2_3_3_5_2_wgs_198_tpt_198_halfLds_half_ip_CI_unitstride_sbrr_R2C_dirReg,@function
fft_rtc_fwd_len1980_factors_11_2_3_3_5_2_wgs_198_tpt_198_halfLds_half_ip_CI_unitstride_sbrr_R2C_dirReg: ; @fft_rtc_fwd_len1980_factors_11_2_3_3_5_2_wgs_198_tpt_198_halfLds_half_ip_CI_unitstride_sbrr_R2C_dirReg
; %bb.0:
	s_load_dwordx2 s[8:9], s[0:1], 0x50
	s_load_dwordx4 s[4:7], s[0:1], 0x0
	s_load_dwordx2 s[10:11], s[0:1], 0x18
	v_mul_u32_u24_e32 v1, 0x14b, v0
	v_add_u32_sdwa v6, s2, v1 dst_sel:DWORD dst_unused:UNUSED_PAD src0_sel:DWORD src1_sel:WORD_1
	v_mov_b32_e32 v4, 0
	s_waitcnt lgkmcnt(0)
	v_cmp_lt_u64_e64 s[2:3], s[6:7], 2
	v_mov_b32_e32 v7, v4
	s_and_b64 vcc, exec, s[2:3]
	v_mov_b64_e32 v[2:3], 0
	s_cbranch_vccnz .LBB0_8
; %bb.1:
	s_load_dwordx2 s[2:3], s[0:1], 0x10
	s_add_u32 s12, s10, 8
	s_addc_u32 s13, s11, 0
	s_mov_b64 s[14:15], 1
	v_mov_b64_e32 v[2:3], 0
	s_waitcnt lgkmcnt(0)
	s_add_u32 s16, s2, 8
	s_addc_u32 s17, s3, 0
.LBB0_2:                                ; =>This Inner Loop Header: Depth=1
	s_load_dwordx2 s[18:19], s[16:17], 0x0
                                        ; implicit-def: $vgpr8_vgpr9
	s_waitcnt lgkmcnt(0)
	v_or_b32_e32 v5, s19, v7
	v_cmp_ne_u64_e32 vcc, 0, v[4:5]
	s_and_saveexec_b64 s[2:3], vcc
	s_xor_b64 s[20:21], exec, s[2:3]
	s_cbranch_execz .LBB0_4
; %bb.3:                                ;   in Loop: Header=BB0_2 Depth=1
	v_cvt_f32_u32_e32 v1, s18
	v_cvt_f32_u32_e32 v5, s19
	s_sub_u32 s2, 0, s18
	s_subb_u32 s3, 0, s19
	v_fmac_f32_e32 v1, 0x4f800000, v5
	v_rcp_f32_e32 v1, v1
	s_nop 0
	v_mul_f32_e32 v1, 0x5f7ffffc, v1
	v_mul_f32_e32 v5, 0x2f800000, v1
	v_trunc_f32_e32 v5, v5
	v_fmac_f32_e32 v1, 0xcf800000, v5
	v_cvt_u32_f32_e32 v5, v5
	v_cvt_u32_f32_e32 v1, v1
	v_mul_lo_u32 v8, s2, v5
	v_mul_hi_u32 v10, s2, v1
	v_mul_lo_u32 v9, s3, v1
	v_add_u32_e32 v10, v10, v8
	v_mul_lo_u32 v12, s2, v1
	v_add_u32_e32 v13, v10, v9
	v_mul_hi_u32 v8, v1, v12
	v_mul_hi_u32 v11, v1, v13
	v_mul_lo_u32 v10, v1, v13
	v_mov_b32_e32 v9, v4
	v_lshl_add_u64 v[8:9], v[8:9], 0, v[10:11]
	v_mul_hi_u32 v11, v5, v12
	v_mul_lo_u32 v12, v5, v12
	v_add_co_u32_e32 v8, vcc, v8, v12
	v_mul_hi_u32 v10, v5, v13
	s_nop 0
	v_addc_co_u32_e32 v8, vcc, v9, v11, vcc
	v_mov_b32_e32 v9, v4
	s_nop 0
	v_addc_co_u32_e32 v11, vcc, 0, v10, vcc
	v_mul_lo_u32 v10, v5, v13
	v_lshl_add_u64 v[8:9], v[8:9], 0, v[10:11]
	v_add_co_u32_e32 v1, vcc, v1, v8
	v_mul_lo_u32 v10, s2, v1
	s_nop 0
	v_addc_co_u32_e32 v5, vcc, v5, v9, vcc
	v_mul_lo_u32 v8, s2, v5
	v_mul_hi_u32 v9, s2, v1
	v_add_u32_e32 v8, v9, v8
	v_mul_lo_u32 v9, s3, v1
	v_add_u32_e32 v12, v8, v9
	v_mul_hi_u32 v14, v5, v10
	v_mul_lo_u32 v15, v5, v10
	v_mul_hi_u32 v9, v1, v12
	v_mul_lo_u32 v8, v1, v12
	v_mul_hi_u32 v10, v1, v10
	v_mov_b32_e32 v11, v4
	v_lshl_add_u64 v[8:9], v[10:11], 0, v[8:9]
	v_add_co_u32_e32 v8, vcc, v8, v15
	v_mul_hi_u32 v13, v5, v12
	s_nop 0
	v_addc_co_u32_e32 v8, vcc, v9, v14, vcc
	v_mul_lo_u32 v10, v5, v12
	s_nop 0
	v_addc_co_u32_e32 v11, vcc, 0, v13, vcc
	v_mov_b32_e32 v9, v4
	v_lshl_add_u64 v[8:9], v[8:9], 0, v[10:11]
	v_add_co_u32_e32 v1, vcc, v1, v8
	v_mul_hi_u32 v10, v6, v1
	s_nop 0
	v_addc_co_u32_e32 v5, vcc, v5, v9, vcc
	v_mad_u64_u32 v[8:9], s[2:3], v6, v5, 0
	v_mov_b32_e32 v11, v4
	v_lshl_add_u64 v[8:9], v[10:11], 0, v[8:9]
	v_mad_u64_u32 v[12:13], s[2:3], v7, v1, 0
	v_add_co_u32_e32 v1, vcc, v8, v12
	v_mad_u64_u32 v[10:11], s[2:3], v7, v5, 0
	s_nop 0
	v_addc_co_u32_e32 v8, vcc, v9, v13, vcc
	v_mov_b32_e32 v9, v4
	s_nop 0
	v_addc_co_u32_e32 v11, vcc, 0, v11, vcc
	v_lshl_add_u64 v[8:9], v[8:9], 0, v[10:11]
	v_mul_lo_u32 v1, s19, v8
	v_mul_lo_u32 v5, s18, v9
	v_mad_u64_u32 v[10:11], s[2:3], s18, v8, 0
	v_add3_u32 v1, v11, v5, v1
	v_sub_u32_e32 v5, v7, v1
	v_mov_b32_e32 v11, s19
	v_sub_co_u32_e32 v14, vcc, v6, v10
	v_lshl_add_u64 v[12:13], v[8:9], 0, 1
	s_nop 0
	v_subb_co_u32_e64 v5, s[2:3], v5, v11, vcc
	v_subrev_co_u32_e64 v10, s[2:3], s18, v14
	v_subb_co_u32_e32 v1, vcc, v7, v1, vcc
	s_nop 0
	v_subbrev_co_u32_e64 v5, s[2:3], 0, v5, s[2:3]
	v_cmp_le_u32_e64 s[2:3], s19, v5
	v_cmp_le_u32_e32 vcc, s19, v1
	s_nop 0
	v_cndmask_b32_e64 v11, 0, -1, s[2:3]
	v_cmp_le_u32_e64 s[2:3], s18, v10
	s_nop 1
	v_cndmask_b32_e64 v10, 0, -1, s[2:3]
	v_cmp_eq_u32_e64 s[2:3], s19, v5
	s_nop 1
	v_cndmask_b32_e64 v5, v11, v10, s[2:3]
	v_lshl_add_u64 v[10:11], v[8:9], 0, 2
	v_cmp_ne_u32_e64 s[2:3], 0, v5
	s_nop 1
	v_cndmask_b32_e64 v5, v13, v11, s[2:3]
	v_cndmask_b32_e64 v11, 0, -1, vcc
	v_cmp_le_u32_e32 vcc, s18, v14
	s_nop 1
	v_cndmask_b32_e64 v13, 0, -1, vcc
	v_cmp_eq_u32_e32 vcc, s19, v1
	s_nop 1
	v_cndmask_b32_e32 v1, v11, v13, vcc
	v_cmp_ne_u32_e32 vcc, 0, v1
	v_cndmask_b32_e64 v1, v12, v10, s[2:3]
	s_nop 0
	v_cndmask_b32_e32 v9, v9, v5, vcc
	v_cndmask_b32_e32 v8, v8, v1, vcc
.LBB0_4:                                ;   in Loop: Header=BB0_2 Depth=1
	s_andn2_saveexec_b64 s[2:3], s[20:21]
	s_cbranch_execz .LBB0_6
; %bb.5:                                ;   in Loop: Header=BB0_2 Depth=1
	v_cvt_f32_u32_e32 v1, s18
	s_sub_i32 s20, 0, s18
	v_rcp_iflag_f32_e32 v1, v1
	s_nop 0
	v_mul_f32_e32 v1, 0x4f7ffffe, v1
	v_cvt_u32_f32_e32 v1, v1
	v_mul_lo_u32 v5, s20, v1
	v_mul_hi_u32 v5, v1, v5
	v_add_u32_e32 v1, v1, v5
	v_mul_hi_u32 v1, v6, v1
	v_mul_lo_u32 v5, v1, s18
	v_sub_u32_e32 v5, v6, v5
	v_add_u32_e32 v8, 1, v1
	v_subrev_u32_e32 v9, s18, v5
	v_cmp_le_u32_e32 vcc, s18, v5
	s_nop 1
	v_cndmask_b32_e32 v5, v5, v9, vcc
	v_cndmask_b32_e32 v1, v1, v8, vcc
	v_add_u32_e32 v8, 1, v1
	v_cmp_le_u32_e32 vcc, s18, v5
	v_mov_b32_e32 v9, v4
	s_nop 0
	v_cndmask_b32_e32 v8, v1, v8, vcc
.LBB0_6:                                ;   in Loop: Header=BB0_2 Depth=1
	s_or_b64 exec, exec, s[2:3]
	v_mad_u64_u32 v[10:11], s[2:3], v8, s18, 0
	s_load_dwordx2 s[2:3], s[12:13], 0x0
	v_mul_lo_u32 v1, v9, s18
	v_mul_lo_u32 v5, v8, s19
	v_add3_u32 v1, v11, v5, v1
	v_sub_co_u32_e32 v5, vcc, v6, v10
	s_add_u32 s14, s14, 1
	s_nop 0
	v_subb_co_u32_e32 v1, vcc, v7, v1, vcc
	s_addc_u32 s15, s15, 0
	s_waitcnt lgkmcnt(0)
	v_mul_lo_u32 v1, s2, v1
	v_mul_lo_u32 v6, s3, v5
	v_mad_u64_u32 v[2:3], s[2:3], s2, v5, v[2:3]
	s_add_u32 s12, s12, 8
	v_add3_u32 v3, v6, v3, v1
	s_addc_u32 s13, s13, 0
	v_mov_b64_e32 v[6:7], s[6:7]
	s_add_u32 s16, s16, 8
	v_cmp_ge_u64_e32 vcc, s[14:15], v[6:7]
	s_addc_u32 s17, s17, 0
	s_cbranch_vccnz .LBB0_9
; %bb.7:                                ;   in Loop: Header=BB0_2 Depth=1
	v_mov_b64_e32 v[6:7], v[8:9]
	s_branch .LBB0_2
.LBB0_8:
	v_mov_b64_e32 v[8:9], v[6:7]
.LBB0_9:
	s_lshl_b64 s[2:3], s[6:7], 3
	s_add_u32 s2, s10, s2
	s_addc_u32 s3, s11, s3
	s_load_dwordx2 s[6:7], s[2:3], 0x0
	s_load_dwordx2 s[10:11], s[0:1], 0x20
	s_mov_b32 s2, 0x14afd6b
	s_waitcnt lgkmcnt(0)
	v_mul_lo_u32 v1, s6, v9
	v_mul_lo_u32 v6, s7, v8
	v_mad_u64_u32 v[4:5], s[0:1], s6, v8, v[2:3]
	v_add3_u32 v5, v6, v5, v1
	v_mul_hi_u32 v1, v0, s2
	v_mul_u32_u24_e32 v1, 0xc6, v1
	v_sub_u32_e32 v2, v0, v1
	v_cmp_gt_u64_e64 s[0:1], s[10:11], v[8:9]
	v_lshl_add_u64 v[0:1], v[4:5], 2, s[8:9]
	v_lshl_add_u32 v14, v2, 2, 0
	s_and_saveexec_b64 s[2:3], s[0:1]
	s_cbranch_execz .LBB0_11
; %bb.10:
	v_mov_b32_e32 v3, 0
	v_lshl_add_u64 v[4:5], v[2:3], 2, v[0:1]
	v_add_co_u32_e32 v6, vcc, 0x1000, v4
	s_nop 1
	v_addc_co_u32_e32 v7, vcc, 0, v5, vcc
	global_load_dword v3, v[4:5], off
	global_load_dword v8, v[4:5], off offset:792
	global_load_dword v9, v[4:5], off offset:1584
	;; [unrolled: 1-line block ×9, first 2 shown]
	v_add_u32_e32 v4, 0x600, v14
	v_add_u32_e32 v5, 0xc00, v14
	;; [unrolled: 1-line block ×4, first 2 shown]
	s_waitcnt vmcnt(8)
	ds_write2_b32 v14, v3, v8 offset1:198
	s_waitcnt vmcnt(6)
	ds_write2_b32 v4, v9, v10 offset0:12 offset1:210
	s_waitcnt vmcnt(4)
	ds_write2_b32 v5, v11, v12 offset0:24 offset1:222
	;; [unrolled: 2-line block ×4, first 2 shown]
.LBB0_11:
	s_or_b64 exec, exec, s[2:3]
	v_add_u32_e32 v3, 0x500, v14
	s_waitcnt lgkmcnt(0)
	s_barrier
	ds_read2_b32 v[6:7], v3 offset0:40 offset1:220
	v_add_u32_e32 v3, 0xb00, v14
	ds_read2_b32 v[4:5], v14 offset1:180
	ds_read2_b32 v[8:9], v3 offset0:16 offset1:196
	ds_read_b32 v15, v14 offset:7200
	v_add_u32_e32 v3, 0x1000, v14
	ds_read2_b32 v[10:11], v3 offset0:56 offset1:236
	v_add_u32_e32 v3, 0x1600, v14
	ds_read2_b32 v[12:13], v3 offset0:32 offset1:212
	s_waitcnt lgkmcnt(2)
	v_sub_f16_sdwa v42, v5, v15 dst_sel:DWORD dst_unused:UNUSED_PAD src0_sel:WORD_1 src1_sel:WORD_1
	v_add_f16_e32 v20, v15, v5
	v_sub_f16_e32 v29, v5, v15
	s_movk_i32 s6, 0x3abb
	v_mul_f16_e32 v16, 0xb853, v42
	s_waitcnt lgkmcnt(0)
	v_sub_f16_sdwa v43, v6, v13 dst_sel:DWORD dst_unused:UNUSED_PAD src0_sel:WORD_1 src1_sel:WORD_1
	v_add_f16_sdwa v24, v15, v5 dst_sel:DWORD dst_unused:UNUSED_PAD src0_sel:WORD_1 src1_sel:WORD_1
	v_mul_f16_e32 v19, 0xb853, v29
	v_fma_f16 v3, v20, s6, v16
	v_add_f16_e32 v23, v13, v6
	v_sub_f16_e32 v34, v6, v13
	s_movk_i32 s7, 0x36a6
	v_mul_f16_e32 v18, 0xbb47, v43
	v_add_f16_e32 v3, v4, v3
	v_fma_f16 v17, v24, s6, -v19
	v_add_f16_sdwa v28, v13, v6 dst_sel:DWORD dst_unused:UNUSED_PAD src0_sel:WORD_1 src1_sel:WORD_1
	v_mul_f16_e32 v22, 0xbb47, v34
	v_fma_f16 v21, v23, s7, v18
	v_add_f16_sdwa v17, v4, v17 dst_sel:DWORD dst_unused:UNUSED_PAD src0_sel:WORD_1 src1_sel:DWORD
	v_add_f16_e32 v3, v21, v3
	v_fma_f16 v21, v28, s7, -v22
	v_sub_f16_sdwa v44, v7, v12 dst_sel:DWORD dst_unused:UNUSED_PAD src0_sel:WORD_1 src1_sel:WORD_1
	v_add_f16_e32 v17, v21, v17
	v_add_f16_e32 v27, v12, v7
	v_sub_f16_e32 v38, v7, v12
	s_mov_b32 s8, 0xb08e
	v_mul_f16_e32 v21, 0xbbeb, v44
	v_add_f16_sdwa v33, v12, v7 dst_sel:DWORD dst_unused:UNUSED_PAD src0_sel:WORD_1 src1_sel:WORD_1
	v_mul_f16_e32 v26, 0xbbeb, v38
	v_fma_f16 v25, v27, s8, v21
	v_add_f16_e32 v3, v25, v3
	v_fma_f16 v25, v33, s8, -v26
	v_sub_f16_sdwa v45, v8, v11 dst_sel:DWORD dst_unused:UNUSED_PAD src0_sel:WORD_1 src1_sel:WORD_1
	v_add_f16_e32 v17, v25, v17
	v_add_f16_e32 v32, v11, v8
	v_sub_f16_e32 v40, v8, v11
	s_mov_b32 s10, 0xb93d
	v_mul_f16_e32 v25, 0xba0c, v45
	v_add_f16_sdwa v36, v11, v8 dst_sel:DWORD dst_unused:UNUSED_PAD src0_sel:WORD_1 src1_sel:WORD_1
	v_mul_f16_e32 v31, 0xba0c, v40
	v_fma_f16 v30, v32, s10, v25
	;; [unrolled: 11-line block ×3, first 2 shown]
	v_add_f16_e32 v3, v47, v3
	v_fma_f16 v47, v39, s12, -v35
	s_movk_i32 s2, 0xb4
	s_mov_b32 s11, 0xb853
	s_mov_b32 s9, 0xbb47
	;; [unrolled: 1-line block ×5, first 2 shown]
	v_add_f16_e32 v17, v47, v17
	v_cmp_gt_u32_e32 vcc, s2, v2
	s_barrier
	s_and_saveexec_b64 s[2:3], vcc
	s_cbranch_execz .LBB0_13
; %bb.12:
	v_mul_f16_e32 v47, 0x36a6, v24
	s_movk_i32 s16, 0x3b47
	v_fma_f16 v48, v29, s16, v47
	v_mul_f16_e32 v49, 0xb93d, v28
	s_movk_i32 s17, 0x3a0c
	v_add_f16_sdwa v48, v4, v48 dst_sel:DWORD dst_unused:UNUSED_PAD src0_sel:WORD_1 src1_sel:DWORD
	v_fma_f16 v50, v34, s17, v49
	v_add_f16_e32 v48, v50, v48
	v_mul_f16_e32 v50, 0xbbad, v33
	v_fma_f16 v51, v38, s15, v50
	v_add_f16_e32 v48, v51, v48
	v_mul_f16_e32 v51, 0xb08e, v36
	;; [unrolled: 3-line block ×4, first 2 shown]
	v_fma_f16 v54, v20, s7, v53
	v_mul_f16_e32 v55, 0xba0c, v43
	v_add_f16_e32 v54, v4, v54
	v_fma_f16 v56, v23, s10, v55
	v_add_f16_e32 v54, v56, v54
	v_mul_f16_e32 v56, 0x3482, v44
	v_fma_f16 v57, v27, s12, v56
	v_add_f16_e32 v54, v57, v54
	v_mul_f16_e32 v57, 0x3beb, v45
	;; [unrolled: 3-line block ×3, first 2 shown]
	v_fma_f16 v59, v37, s6, v58
	s_movk_i32 s18, 0x3beb
	v_add_f16_e32 v54, v59, v54
	v_mul_f16_e32 v59, 0xb08e, v24
	v_fma_f16 v60, v29, s18, v59
	v_mul_f16_e32 v61, 0xbbad, v28
	v_add_f16_sdwa v60, v4, v60 dst_sel:DWORD dst_unused:UNUSED_PAD src0_sel:WORD_1 src1_sel:DWORD
	v_fma_f16 v62, v34, s15, v61
	v_add_f16_e32 v60, v62, v60
	v_mul_f16_e32 v62, 0x36a6, v33
	v_fma_f16 v63, v38, s9, v62
	v_add_f16_e32 v60, v63, v60
	s_movk_i32 s19, 0x3853
	v_mul_f16_e32 v63, 0x3abb, v36
	v_fma_f16 v64, v40, s19, v63
	v_add_f16_e32 v60, v64, v60
	v_mul_f16_e32 v64, 0xb93d, v39
	v_fma_f16 v65, v41, s17, v64
	v_add_f16_e32 v60, v65, v60
	v_mul_f16_e32 v65, 0xbbeb, v42
	v_fma_f16 v66, v20, s8, v65
	v_mul_f16_e32 v67, 0x3482, v43
	v_add_f16_e32 v66, v4, v66
	v_fma_f16 v68, v23, s12, v67
	v_add_f16_e32 v66, v68, v66
	v_mul_f16_e32 v68, 0x3b47, v44
	v_fma_f16 v69, v27, s7, v68
	v_add_f16_e32 v66, v69, v66
	v_mul_f16_e32 v69, 0xb853, v45
	;; [unrolled: 3-line block ×4, first 2 shown]
	v_fma_f16 v72, v29, s17, v71
	v_mul_f16_e32 v73, 0xb08e, v28
	v_add_f16_sdwa v72, v4, v72 dst_sel:DWORD dst_unused:UNUSED_PAD src0_sel:WORD_1 src1_sel:DWORD
	v_fma_f16 v74, v34, s14, v73
	v_add_f16_e32 v72, v74, v72
	v_mul_f16_e32 v74, 0x3abb, v33
	v_fma_f16 v75, v38, s19, v74
	v_add_f16_e32 v72, v75, v72
	s_movk_i32 s20, 0x3482
	v_mul_f16_e32 v75, 0xbbad, v36
	v_fma_f16 v76, v40, s20, v75
	v_add_f16_e32 v72, v76, v72
	v_mul_f16_e32 v76, 0x36a6, v39
	v_fma_f16 v77, v41, s9, v76
	v_add_f16_e32 v72, v77, v72
	v_mul_f16_e32 v77, 0xba0c, v42
	v_fma_f16 v78, v20, s10, v77
	v_mul_f16_e32 v79, 0x3beb, v43
	v_add_f16_e32 v78, v4, v78
	v_fma_f16 v80, v23, s8, v79
	v_add_f16_e32 v78, v80, v78
	v_mul_f16_e32 v80, 0xb853, v44
	v_fma_f16 v81, v27, s6, v80
	v_add_f16_e32 v78, v81, v78
	v_mul_f16_e32 v81, 0xb482, v45
	;; [unrolled: 3-line block ×4, first 2 shown]
	v_fma_f16 v84, v29, s20, v83
	v_mul_f16_e32 v85, 0x3abb, v28
	v_add_f16_sdwa v84, v4, v84 dst_sel:DWORD dst_unused:UNUSED_PAD src0_sel:WORD_1 src1_sel:DWORD
	v_fma_f16 v86, v34, s11, v85
	v_add_f16_e32 v84, v86, v84
	v_mul_f16_e32 v86, 0xb93d, v33
	v_fma_f16 v87, v38, s17, v86
	v_add_f16_e32 v84, v87, v84
	v_mul_f16_e32 v87, 0x36a6, v36
	;; [unrolled: 3-line block ×3, first 2 shown]
	v_fma_f16 v89, v41, s18, v88
	v_mul_f16_e32 v42, 0xb482, v42
	v_add_f16_e32 v84, v89, v84
	v_fma_f16 v89, v20, s12, v42
	v_mul_f16_e32 v43, 0x3853, v43
	v_fma_f16 v42, v20, s12, -v42
	v_fma_f16 v90, v23, s6, v43
	v_mul_f16_e32 v44, 0xba0c, v44
	v_add_f16_e32 v42, v4, v42
	v_fma_f16 v43, v23, s6, -v43
	v_mul_f16_e32 v45, 0x3b47, v45
	v_add_f16_e32 v42, v43, v42
	v_fma_f16 v43, v27, s10, -v44
	;; [unrolled: 3-line block ×3, first 2 shown]
	v_add_f16_e32 v42, v43, v42
	v_fma_f16 v43, v37, s8, -v46
	v_add_f16_e32 v89, v4, v89
	v_add_f16_e32 v42, v43, v42
	v_fma_f16 v43, v29, s13, v71
	v_add_f16_e32 v89, v90, v89
	v_fma_f16 v90, v27, s10, v44
	v_add_f16_sdwa v43, v4, v43 dst_sel:DWORD dst_unused:UNUSED_PAD src0_sel:WORD_1 src1_sel:DWORD
	v_fma_f16 v44, v34, s18, v73
	v_add_f16_e32 v43, v44, v43
	v_fma_f16 v44, v38, s11, v74
	v_add_f16_e32 v43, v44, v43
	;; [unrolled: 2-line block ×4, first 2 shown]
	v_fma_f16 v44, v20, s10, -v77
	v_add_f16_e32 v89, v90, v89
	v_fma_f16 v90, v32, s7, v45
	v_add_f16_e32 v44, v4, v44
	v_fma_f16 v45, v23, s8, -v79
	v_add_f16_e32 v44, v45, v44
	v_fma_f16 v45, v27, s6, -v80
	;; [unrolled: 2-line block ×4, first 2 shown]
	v_fma_f16 v83, v29, s15, v83
	v_add_f16_e32 v44, v45, v44
	v_fma_f16 v45, v29, s14, v59
	v_fma_f16 v29, v29, s9, v47
	v_add_f16_e32 v89, v90, v89
	v_fma_f16 v90, v37, s8, v46
	v_fma_f16 v85, v34, s19, v85
	;; [unrolled: 1-line block ×4, first 2 shown]
	v_add_f16_sdwa v29, v4, v29 dst_sel:DWORD dst_unused:UNUSED_PAD src0_sel:WORD_1 src1_sel:DWORD
	v_add_f16_sdwa v83, v4, v83 dst_sel:DWORD dst_unused:UNUSED_PAD src0_sel:WORD_1 src1_sel:DWORD
	;; [unrolled: 1-line block ×3, first 2 shown]
	v_add_f16_e32 v29, v34, v29
	v_fma_f16 v34, v38, s20, v50
	v_add_f16_e32 v83, v85, v83
	v_fma_f16 v85, v38, s13, v86
	;; [unrolled: 2-line block ×4, first 2 shown]
	v_mul_f16_e32 v38, 0x3abb, v20
	v_add_f16_e32 v83, v85, v83
	v_fma_f16 v85, v40, s16, v87
	v_add_f16_e32 v45, v46, v45
	v_fma_f16 v46, v40, s11, v63
	v_add_f16_e32 v29, v34, v29
	v_mul_f16_e32 v34, 0x36a6, v23
	v_sub_f16_e32 v16, v38, v16
	v_add_f16_e32 v83, v85, v83
	v_fma_f16 v85, v41, s14, v88
	v_add_f16_e32 v45, v46, v45
	v_fma_f16 v46, v41, s13, v64
	v_fma_f16 v40, v41, s19, v52
	v_mul_f16_e32 v41, 0xb08e, v27
	v_add_f16_e32 v16, v4, v16
	v_sub_f16_e32 v18, v34, v18
	v_add_f16_e32 v29, v40, v29
	v_mul_f16_e32 v40, 0xb93d, v32
	v_add_f16_e32 v16, v18, v16
	v_sub_f16_e32 v18, v41, v21
	v_mul_f16_e32 v24, 0x3abb, v24
	v_mul_f16_e32 v47, 0xbbad, v37
	v_add_f16_e32 v16, v18, v16
	v_sub_f16_e32 v18, v40, v25
	v_add_f16_e32 v45, v46, v45
	v_fma_f16 v46, v20, s8, -v65
	v_fma_f16 v20, v20, s7, -v53
	v_add_f16_e32 v19, v19, v24
	v_add_f16_e32 v16, v18, v16
	v_sub_f16_e32 v18, v47, v30
	v_add_f16_e32 v46, v4, v46
	v_add_f16_e32 v20, v4, v20
	v_add_f16_sdwa v19, v4, v19 dst_sel:DWORD dst_unused:UNUSED_PAD src0_sel:WORD_1 src1_sel:DWORD
	v_add_f16_e32 v16, v18, v16
	v_add_f16_e32 v18, v4, v5
	v_add_f16_sdwa v4, v4, v5 dst_sel:DWORD dst_unused:UNUSED_PAD src0_sel:WORD_1 src1_sel:WORD_1
	v_add_f16_e32 v18, v18, v6
	v_add_f16_sdwa v4, v4, v6 dst_sel:DWORD dst_unused:UNUSED_PAD src0_sel:DWORD src1_sel:WORD_1
	v_add_f16_e32 v18, v18, v7
	v_add_f16_sdwa v4, v4, v7 dst_sel:DWORD dst_unused:UNUSED_PAD src0_sel:DWORD src1_sel:WORD_1
	;; [unrolled: 2-line block ×3, first 2 shown]
	v_mul_f16_e32 v28, 0x36a6, v28
	v_add_f16_e32 v18, v18, v9
	v_add_f16_sdwa v4, v4, v9 dst_sel:DWORD dst_unused:UNUSED_PAD src0_sel:DWORD src1_sel:WORD_1
	v_mul_f16_e32 v33, 0xb08e, v33
	v_add_f16_e32 v22, v22, v28
	v_add_f16_e32 v18, v18, v10
	v_add_f16_sdwa v4, v4, v10 dst_sel:DWORD dst_unused:UNUSED_PAD src0_sel:DWORD src1_sel:WORD_1
	v_fma_f16 v59, v23, s12, -v67
	v_mul_f16_e32 v36, 0xb93d, v36
	v_fma_f16 v23, v23, s10, -v55
	v_add_f16_e32 v19, v22, v19
	v_add_f16_e32 v22, v26, v33
	;; [unrolled: 1-line block ×3, first 2 shown]
	v_add_f16_sdwa v4, v4, v11 dst_sel:DWORD dst_unused:UNUSED_PAD src0_sel:DWORD src1_sel:WORD_1
	v_add_f16_e32 v46, v59, v46
	v_fma_f16 v59, v27, s7, -v68
	v_mul_f16_e32 v39, 0xbbad, v39
	v_add_f16_e32 v20, v23, v20
	v_fma_f16 v23, v27, s12, -v56
	v_add_f16_e32 v19, v22, v19
	v_add_f16_e32 v22, v31, v36
	;; [unrolled: 1-line block ×3, first 2 shown]
	v_add_f16_sdwa v4, v4, v12 dst_sel:DWORD dst_unused:UNUSED_PAD src0_sel:DWORD src1_sel:WORD_1
	v_add_f16_e32 v46, v59, v46
	v_fma_f16 v59, v32, s6, -v69
	v_add_f16_e32 v20, v23, v20
	v_fma_f16 v23, v32, s8, -v57
	v_add_f16_e32 v19, v22, v19
	v_add_f16_e32 v22, v35, v39
	;; [unrolled: 1-line block ×3, first 2 shown]
	v_add_f16_sdwa v4, v4, v13 dst_sel:DWORD dst_unused:UNUSED_PAD src0_sel:DWORD src1_sel:WORD_1
	v_add_f16_e32 v46, v59, v46
	v_fma_f16 v59, v37, s10, -v70
	v_add_f16_e32 v20, v23, v20
	v_fma_f16 v23, v37, s6, -v58
	v_add_f16_e32 v19, v22, v19
	v_add_f16_e32 v18, v18, v15
	v_add_f16_sdwa v4, v4, v15 dst_sel:DWORD dst_unused:UNUSED_PAD src0_sel:DWORD src1_sel:WORD_1
	v_add_f16_e32 v46, v59, v46
	v_add_f16_e32 v20, v23, v20
	v_mad_u32_u24 v5, v2, 40, v14
	v_pack_b32_f16 v6, v16, v19
	v_pack_b32_f16 v4, v18, v4
	v_add_f16_e32 v83, v85, v83
	ds_write2_b32 v5, v4, v6 offset1:1
	v_pack_b32_f16 v4, v46, v45
	v_pack_b32_f16 v6, v20, v29
	v_add_f16_e32 v89, v90, v89
	ds_write2_b32 v5, v6, v4 offset0:2 offset1:3
	v_pack_b32_f16 v4, v42, v83
	v_pack_b32_f16 v6, v44, v43
	ds_write2_b32 v5, v6, v4 offset0:4 offset1:5
	v_pack_b32_f16 v4, v78, v72
	v_pack_b32_f16 v6, v89, v84
	;; [unrolled: 3-line block ×3, first 2 shown]
	s_mov_b32 s6, 0x5040100
	ds_write2_b32 v5, v6, v4 offset0:8 offset1:9
	v_perm_b32 v4, v17, v3, s6
	ds_write_b32 v5, v4 offset:40
.LBB0_13:
	s_or_b64 exec, exec, s[2:3]
	v_add_u32_e32 v5, 0xc6, v2
	s_mov_b32 s2, 0xba2f
	v_mul_u32_u24_sdwa v19, v5, s2 dst_sel:DWORD dst_unused:UNUSED_PAD src0_sel:WORD_0 src1_sel:DWORD
	v_add_u32_e32 v6, 0x18c, v2
	v_add_u32_e32 v7, 0x318, v2
	v_lshrrev_b32_e32 v24, 19, v19
	v_add_u32_e32 v4, 0x252, v2
	v_mul_lo_u16_e32 v8, 11, v24
	v_mul_u32_u24_sdwa v9, v7, s2 dst_sel:DWORD dst_unused:UNUSED_PAD src0_sel:WORD_0 src1_sel:DWORD
	v_mul_u32_u24_sdwa v20, v6, s2 dst_sel:DWORD dst_unused:UNUSED_PAD src0_sel:WORD_0 src1_sel:DWORD
	v_sub_u16_e32 v8, v5, v8
	v_lshrrev_b32_e32 v25, 19, v9
	v_lshrrev_b32_e32 v28, 19, v20
	v_mul_u32_u24_sdwa v18, v4, s2 dst_sel:DWORD dst_unused:UNUSED_PAD src0_sel:WORD_0 src1_sel:DWORD
	v_mul_lo_u16_e32 v9, 11, v25
	v_lshlrev_b32_e32 v27, 2, v8
	v_mul_lo_u16_e32 v8, 11, v28
	v_lshrrev_b32_e32 v29, 19, v18
	v_sub_u16_e32 v7, v7, v9
	v_sub_u16_e32 v8, v6, v8
	v_mul_lo_u16_e32 v9, 11, v29
	s_movk_i32 s2, 0x75
	v_sub_u16_e32 v9, v4, v9
	v_lshlrev_b32_e32 v30, 2, v8
	v_mul_lo_u16_sdwa v8, v2, s2 dst_sel:DWORD dst_unused:UNUSED_PAD src0_sel:BYTE_0 src1_sel:DWORD
	v_lshlrev_b32_e32 v31, 2, v9
	v_sub_u16_sdwa v9, v2, v8 dst_sel:DWORD dst_unused:UNUSED_PAD src0_sel:DWORD src1_sel:BYTE_1
	v_lshrrev_b16_e32 v9, 1, v9
	v_and_b32_e32 v9, 0x7f, v9
	v_add_u16_sdwa v8, v9, v8 dst_sel:DWORD dst_unused:UNUSED_PAD src0_sel:DWORD src1_sel:BYTE_1
	v_lshrrev_b16_e32 v35, 3, v8
	v_lshlrev_b32_e32 v7, 2, v7
	v_mul_lo_u16_e32 v8, 11, v35
	s_waitcnt lgkmcnt(0)
	s_barrier
	global_load_dword v26, v7, s[4:5]
	global_load_dword v32, v31, s[4:5]
	;; [unrolled: 1-line block ×4, first 2 shown]
	v_sub_u16_e32 v8, v2, v8
	v_mov_b32_e32 v21, 2
	v_lshlrev_b32_sdwa v36, v21, v8 dst_sel:DWORD dst_unused:UNUSED_PAD src0_sel:DWORD src1_sel:BYTE_0
	global_load_dword v37, v36, s[4:5]
	v_add_u32_e32 v10, 0xc00, v14
	v_add_u32_e32 v12, 0x1200, v14
	ds_read2_b32 v[8:9], v14 offset1:198
	ds_read2_b32 v[10:11], v10 offset0:24 offset1:222
	ds_read2_b32 v[12:13], v12 offset0:36 offset1:234
	v_add_u32_e32 v22, 0x1800, v14
	s_mov_b32 s6, 0x5040100
	s_movk_i32 s3, 0x58
	v_lshl_add_u32 v16, v6, 2, 0
	v_lshl_add_u32 v15, v4, 2, 0
	ds_read2_b32 v[22:23], v22 offset0:48 offset1:246
	ds_read_b32 v38, v16
	ds_read_b32 v39, v15
	v_perm_b32 v28, v29, v28, s6
	v_mul_u32_u24_e32 v25, 0x58, v25
	v_pk_mul_lo_u16 v28, v28, s3 op_sel_hi:[1,0]
	v_mul_u32_u24_e32 v24, 0x58, v24
	v_and_b32_e32 v29, 0xfff8, v28
	v_add3_u32 v25, 0, v25, v7
	v_mul_u32_u24_e32 v7, 0x58, v35
	v_add3_u32 v24, 0, v24, v27
	v_add3_u32 v27, 0, v29, v30
	;; [unrolled: 1-line block ×3, first 2 shown]
	s_mov_b32 s2, 0xffff
	v_lshrrev_b32_e32 v28, 16, v28
	v_add3_u32 v28, 0, v28, v31
	s_waitcnt lgkmcnt(0)
	s_barrier
	s_waitcnt vmcnt(3)
	v_pk_mul_f16 v30, v32, v22 op_sel:[0,1]
	v_pk_mul_f16 v7, v26, v23 op_sel:[0,1]
	s_waitcnt vmcnt(1)
	v_pk_mul_f16 v35, v34, v12 op_sel:[0,1]
	v_pk_fma_f16 v36, v26, v23, v7 op_sel:[0,0,1] op_sel_hi:[1,0,0]
	v_pk_fma_f16 v7, v26, v23, v7 op_sel:[0,0,1] op_sel_hi:[1,0,0] neg_lo:[0,0,1] neg_hi:[0,0,1]
	v_pk_fma_f16 v23, v32, v22, v30 op_sel:[0,0,1] op_sel_hi:[1,1,0] neg_lo:[0,0,1] neg_hi:[0,0,1]
	v_pk_fma_f16 v22, v32, v22, v30 op_sel:[0,0,1] op_sel_hi:[1,0,0]
	v_pk_fma_f16 v30, v34, v12, v35 op_sel:[0,0,1] op_sel_hi:[1,1,0] neg_lo:[0,0,1] neg_hi:[0,0,1]
	v_pk_fma_f16 v12, v34, v12, v35 op_sel:[0,0,1] op_sel_hi:[1,0,0]
	v_pk_mul_f16 v31, v33, v13 op_sel:[0,1]
	v_bfi_b32 v12, s2, v30, v12
	s_waitcnt vmcnt(0)
	v_pk_mul_f16 v30, v37, v11 op_sel:[0,1]
	v_pk_fma_f16 v26, v33, v13, v31 op_sel:[0,0,1] op_sel_hi:[1,1,0] neg_lo:[0,0,1] neg_hi:[0,0,1]
	v_pk_fma_f16 v13, v33, v13, v31 op_sel:[0,0,1] op_sel_hi:[1,0,0]
	v_pk_fma_f16 v31, v37, v11, v30 op_sel:[0,0,1] op_sel_hi:[1,1,0] neg_lo:[0,0,1] neg_hi:[0,0,1]
	v_pk_fma_f16 v11, v37, v11, v30 op_sel:[0,0,1] op_sel_hi:[1,0,0]
	v_bfi_b32 v7, s2, v7, v36
	v_bfi_b32 v11, s2, v31, v11
	;; [unrolled: 1-line block ×4, first 2 shown]
	v_pk_add_f16 v7, v10, v7 neg_lo:[0,1] neg_hi:[0,1]
	v_pk_add_f16 v11, v8, v11 neg_lo:[0,1] neg_hi:[0,1]
	v_pk_add_f16 v22, v39, v22 neg_lo:[0,1] neg_hi:[0,1]
	v_pk_add_f16 v13, v38, v13 neg_lo:[0,1] neg_hi:[0,1]
	v_pk_fma_f16 v10, v10, 2.0, v7 op_sel_hi:[1,0,1] neg_lo:[0,0,1] neg_hi:[0,0,1]
	v_pk_add_f16 v12, v9, v12 neg_lo:[0,1] neg_hi:[0,1]
	v_pk_fma_f16 v8, v8, 2.0, v11 op_sel_hi:[1,0,1] neg_lo:[0,0,1] neg_hi:[0,0,1]
	v_pk_fma_f16 v23, v39, 2.0, v22 op_sel_hi:[1,0,1] neg_lo:[0,0,1] neg_hi:[0,0,1]
	;; [unrolled: 1-line block ×4, first 2 shown]
	ds_write2_b32 v29, v8, v11 offset1:11
	ds_write2_b32 v24, v9, v12 offset1:11
	;; [unrolled: 1-line block ×5, first 2 shown]
	v_add_u32_e32 v10, 0xa00, v14
	v_add_u32_e32 v12, 0x1400, v14
	s_waitcnt lgkmcnt(0)
	s_barrier
	ds_read2_b32 v[8:9], v14 offset1:198
	ds_read2_b32 v[10:11], v10 offset0:20 offset1:218
	ds_read2_b32 v[12:13], v12 offset0:40 offset1:238
	ds_read_b32 v22, v16
	ds_read_b32 v26, v14 offset:4224
	ds_read_b32 v25, v14 offset:6864
	s_movk_i32 s2, 0x42
	v_cmp_gt_u32_e32 vcc, s2, v2
                                        ; implicit-def: $vgpr28
                                        ; implicit-def: $vgpr27
	s_and_saveexec_b64 s[2:3], vcc
	s_cbranch_execz .LBB0_15
; %bb.14:
	ds_read_b32 v27, v14 offset:7656
	ds_read_b32 v3, v14 offset:5016
	ds_read_b32 v7, v15
	s_waitcnt lgkmcnt(2)
	v_lshrrev_b32_e32 v28, 16, v27
	s_waitcnt lgkmcnt(1)
	v_lshrrev_b32_e32 v17, 16, v3
.LBB0_15:
	s_or_b64 exec, exec, s[2:3]
	v_lshrrev_b16_e32 v23, 1, v2
	v_and_b32_e32 v23, 0x7f, v23
	v_mul_lo_u16_e32 v23, 0xbb, v23
	v_lshrrev_b16_e32 v29, 11, v23
	v_mul_lo_u16_e32 v23, 22, v29
	v_sub_u16_e32 v36, v2, v23
	v_mov_b32_e32 v23, 3
	v_lshlrev_b32_sdwa v23, v23, v36 dst_sel:DWORD dst_unused:UNUSED_PAD src0_sel:DWORD src1_sel:BYTE_0
	v_lshrrev_b32_e32 v39, 20, v20
	v_lshrrev_b32_e32 v37, 20, v19
	global_load_dwordx2 v[30:31], v23, s[4:5] offset:44
	v_mul_lo_u16_e32 v20, 22, v39
	v_lshrrev_b32_e32 v23, 20, v18
	v_mul_lo_u16_e32 v19, 22, v37
	v_sub_u16_e32 v40, v6, v20
	v_mul_lo_u16_e32 v20, 22, v23
	v_sub_u16_e32 v38, v5, v19
	v_sub_u16_e32 v24, v4, v20
	v_lshlrev_b32_e32 v19, 3, v38
	v_lshlrev_b32_e32 v20, 3, v24
	global_load_dwordx2 v[32:33], v19, s[4:5] offset:44
	global_load_dwordx2 v[34:35], v20, s[4:5] offset:44
	v_lshlrev_b32_e32 v19, 3, v40
	global_load_dwordx2 v[18:19], v19, s[4:5] offset:44
	s_waitcnt lgkmcnt(4)
	v_lshrrev_b32_e32 v43, 16, v10
	s_waitcnt lgkmcnt(3)
	v_lshrrev_b32_e32 v44, 16, v12
	v_lshrrev_b32_e32 v45, 16, v11
	;; [unrolled: 1-line block ×3, first 2 shown]
	s_waitcnt lgkmcnt(1)
	v_lshrrev_b32_e32 v47, 16, v26
	s_waitcnt lgkmcnt(0)
	v_lshrrev_b32_e32 v48, 16, v25
	v_lshrrev_b32_e32 v20, 16, v8
	;; [unrolled: 1-line block ×3, first 2 shown]
	s_movk_i32 s2, 0x3aee
	s_mov_b32 s3, 0xbaee
	v_lshrrev_b32_e32 v42, 16, v22
	v_lshlrev_b32_sdwa v21, v21, v36 dst_sel:DWORD dst_unused:UNUSED_PAD src0_sel:DWORD src1_sel:BYTE_0
	s_barrier
	s_waitcnt vmcnt(3)
	v_mul_f16_sdwa v49, v30, v43 dst_sel:DWORD dst_unused:UNUSED_PAD src0_sel:WORD_1 src1_sel:DWORD
	v_mul_f16_sdwa v51, v31, v44 dst_sel:DWORD dst_unused:UNUSED_PAD src0_sel:WORD_1 src1_sel:DWORD
	;; [unrolled: 1-line block ×4, first 2 shown]
	v_fma_f16 v10, v30, v10, -v49
	v_fma_f16 v12, v31, v12, -v51
	v_fma_f16 v30, v30, v43, v50
	v_fma_f16 v31, v31, v44, v52
	v_add_f16_e32 v44, v20, v30
	s_waitcnt vmcnt(2)
	v_mul_f16_sdwa v53, v32, v45 dst_sel:DWORD dst_unused:UNUSED_PAD src0_sel:WORD_1 src1_sel:DWORD
	v_mul_f16_sdwa v54, v32, v11 dst_sel:DWORD dst_unused:UNUSED_PAD src0_sel:WORD_1 src1_sel:DWORD
	;; [unrolled: 1-line block ×4, first 2 shown]
	s_waitcnt vmcnt(1)
	v_mul_f16_sdwa v61, v17, v34 dst_sel:DWORD dst_unused:UNUSED_PAD src0_sel:DWORD src1_sel:WORD_1
	v_mul_f16_sdwa v62, v3, v34 dst_sel:DWORD dst_unused:UNUSED_PAD src0_sel:DWORD src1_sel:WORD_1
	s_waitcnt vmcnt(0)
	v_mul_f16_sdwa v57, v18, v47 dst_sel:DWORD dst_unused:UNUSED_PAD src0_sel:WORD_1 src1_sel:DWORD
	v_mul_f16_sdwa v58, v18, v26 dst_sel:DWORD dst_unused:UNUSED_PAD src0_sel:WORD_1 src1_sel:DWORD
	;; [unrolled: 1-line block ×4, first 2 shown]
	v_mul_f16_sdwa v63, v28, v35 dst_sel:DWORD dst_unused:UNUSED_PAD src0_sel:DWORD src1_sel:WORD_1
	v_mul_f16_sdwa v64, v27, v35 dst_sel:DWORD dst_unused:UNUSED_PAD src0_sel:DWORD src1_sel:WORD_1
	v_fma_f16 v11, v32, v11, -v53
	v_fma_f16 v32, v32, v45, v54
	v_fma_f16 v13, v33, v13, -v55
	v_fma_f16 v33, v33, v46, v56
	;; [unrolled: 2-line block ×3, first 2 shown]
	v_add_f16_e32 v3, v8, v10
	v_add_f16_e32 v17, v10, v12
	v_fma_f16 v26, v18, v26, -v57
	v_fma_f16 v18, v18, v47, v58
	v_fma_f16 v25, v19, v25, -v59
	v_fma_f16 v19, v19, v48, v60
	;; [unrolled: 2-line block ×3, first 2 shown]
	v_sub_f16_e32 v35, v30, v31
	v_add_f16_e32 v30, v30, v31
	v_sub_f16_e32 v10, v10, v12
	v_sub_f16_e32 v47, v32, v33
	v_add_f16_e32 v48, v41, v32
	v_add_f16_e32 v32, v32, v33
	;; [unrolled: 1-line block ×3, first 2 shown]
	v_fma_f16 v3, v17, -0.5, v8
	v_add_f16_e32 v45, v9, v11
	v_add_f16_e32 v8, v44, v31
	v_fma_f16 v17, v30, -0.5, v20
	v_add_f16_e32 v31, v48, v33
	v_fma_f16 v20, v32, -0.5, v41
	v_fma_f16 v32, v35, s2, v3
	v_fma_f16 v33, v35, s3, v3
	v_sub_f16_e32 v3, v11, v13
	v_add_f16_e32 v46, v11, v13
	v_add_f16_e32 v30, v45, v13
	v_fma_f16 v11, v3, s3, v20
	v_fma_f16 v13, v3, s2, v20
	v_add_f16_e32 v3, v22, v26
	v_add_f16_e32 v44, v3, v25
	;; [unrolled: 1-line block ×3, first 2 shown]
	v_fma_f16 v35, v10, s3, v17
	v_fma_f16 v10, v10, s2, v17
	v_fma_f16 v3, v3, -0.5, v22
	v_sub_f16_e32 v17, v18, v19
	v_fma_f16 v22, v17, s2, v3
	v_fma_f16 v45, v17, s3, v3
	v_add_f16_e32 v3, v42, v18
	v_fma_f16 v9, v46, -0.5, v9
	v_add_f16_e32 v46, v3, v19
	v_add_f16_e32 v3, v18, v19
	v_fma_f16 v3, v3, -0.5, v42
	v_sub_f16_e32 v17, v26, v25
	v_fma_f16 v25, v17, s3, v3
	v_fma_f16 v26, v17, s2, v3
	v_add_f16_e32 v17, v43, v27
	v_fma_f16 v17, v17, -0.5, v7
	v_sub_f16_e32 v19, v34, v28
	v_add_f16_e32 v3, v7, v43
	v_fma_f16 v18, v19, s2, v17
	v_fma_f16 v17, v19, s3, v17
	v_lshrrev_b32_e32 v19, 16, v7
	v_add_f16_e32 v20, v34, v28
	v_add_f16_e32 v3, v3, v27
	;; [unrolled: 1-line block ×3, first 2 shown]
	v_fma_f16 v19, v20, -0.5, v19
	v_sub_f16_e32 v27, v43, v27
	v_fma_f16 v20, v27, s3, v19
	v_fma_f16 v19, v27, s2, v19
	v_mul_u32_u24_e32 v27, 0x108, v29
	v_add3_u32 v21, 0, v27, v21
	v_pack_b32_f16 v8, v12, v8
	v_pack_b32_f16 v12, v32, v35
	ds_write2_b32 v21, v8, v12 offset1:22
	v_pack_b32_f16 v8, v33, v10
	v_fma_f16 v41, v47, s2, v9
	v_fma_f16 v9, v47, s3, v9
	ds_write_b32 v21, v8 offset:176
	v_mul_u32_u24_e32 v8, 0x108, v37
	v_lshlrev_b32_e32 v10, 2, v38
	v_add3_u32 v8, 0, v8, v10
	v_pack_b32_f16 v10, v30, v31
	v_pack_b32_f16 v11, v41, v11
	;; [unrolled: 1-line block ×3, first 2 shown]
	ds_write2_b32 v8, v10, v11 offset1:22
	ds_write_b32 v8, v9 offset:176
	v_mul_u32_u24_e32 v8, 0x108, v39
	v_lshlrev_b32_e32 v9, 2, v40
	v_add3_u32 v8, 0, v8, v9
	v_pack_b32_f16 v9, v44, v46
	v_pack_b32_f16 v10, v22, v25
	v_add_f16_e32 v7, v7, v28
	ds_write2_b32 v8, v9, v10 offset1:22
	v_pack_b32_f16 v9, v45, v26
	ds_write_b32 v8, v9 offset:176
	s_and_saveexec_b64 s[2:3], vcc
	s_cbranch_execz .LBB0_17
; %bb.16:
	v_mul_lo_u16_e32 v8, 0x42, v23
	v_lshlrev_b32_e32 v9, 2, v24
	v_lshlrev_b32_e32 v8, 2, v8
	v_add3_u32 v8, 0, v9, v8
	v_perm_b32 v9, v7, v3, s6
	v_perm_b32 v10, v20, v18, s6
	ds_write2_b32 v8, v9, v10 offset1:22
	v_perm_b32 v9, v19, v17, s6
	ds_write_b32 v8, v9 offset:176
.LBB0_17:
	s_or_b64 exec, exec, s[2:3]
	v_add_u32_e32 v10, 0xa00, v14
	v_add_u32_e32 v12, 0x1400, v14
	s_waitcnt lgkmcnt(0)
	s_barrier
	ds_read2_b32 v[8:9], v14 offset1:198
	ds_read2_b32 v[10:11], v10 offset0:20 offset1:218
	ds_read2_b32 v[12:13], v12 offset0:40 offset1:238
	ds_read_b32 v21, v16
	ds_read_b32 v23, v14 offset:4224
	ds_read_b32 v22, v14 offset:6864
	s_and_saveexec_b64 s[2:3], vcc
	s_cbranch_execz .LBB0_19
; %bb.18:
	ds_read_b32 v3, v15
	ds_read_b32 v17, v14 offset:7656
	ds_read_b32 v18, v14 offset:5016
	s_waitcnt lgkmcnt(2)
	v_lshrrev_b32_e32 v7, 16, v3
	s_waitcnt lgkmcnt(1)
	v_lshrrev_b32_e32 v19, 16, v17
	;; [unrolled: 2-line block ×3, first 2 shown]
.LBB0_19:
	s_or_b64 exec, exec, s[2:3]
	s_movk_i32 s2, 0xf9
	v_mul_lo_u16_sdwa v24, v2, s2 dst_sel:DWORD dst_unused:UNUSED_PAD src0_sel:BYTE_0 src1_sel:DWORD
	s_mov_b32 s9, 0xf83f
	v_lshrrev_b16_e32 v30, 14, v24
	v_mul_u32_u24_sdwa v25, v5, s9 dst_sel:DWORD dst_unused:UNUSED_PAD src0_sel:WORD_0 src1_sel:DWORD
	v_mul_lo_u16_e32 v24, 0x42, v30
	v_lshrrev_b32_e32 v32, 22, v25
	v_mul_u32_u24_sdwa v27, v6, s9 dst_sel:DWORD dst_unused:UNUSED_PAD src0_sel:WORD_0 src1_sel:DWORD
	v_sub_u16_e32 v31, v2, v24
	v_mov_b32_e32 v24, 3
	v_mul_lo_u16_e32 v25, 0x42, v32
	v_lshrrev_b32_e32 v33, 22, v27
	v_lshlrev_b32_sdwa v24, v24, v31 dst_sel:DWORD dst_unused:UNUSED_PAD src0_sel:DWORD src1_sel:BYTE_0
	v_sub_u16_e32 v5, v5, v25
	v_mul_lo_u16_e32 v28, 0x42, v33
	global_load_dwordx2 v[24:25], v24, s[4:5] offset:220
	v_lshlrev_b32_e32 v26, 3, v5
	global_load_dwordx2 v[26:27], v26, s[4:5] offset:220
	v_sub_u16_e32 v34, v6, v28
	v_lshlrev_b32_e32 v28, 3, v34
	global_load_dwordx2 v[28:29], v28, s[4:5] offset:220
	s_waitcnt lgkmcnt(4)
	v_lshrrev_b32_e32 v38, 16, v10
	s_waitcnt lgkmcnt(3)
	v_lshrrev_b32_e32 v39, 16, v12
	v_lshrrev_b32_e32 v40, 16, v11
	;; [unrolled: 1-line block ×3, first 2 shown]
	s_waitcnt lgkmcnt(1)
	v_lshrrev_b32_e32 v42, 16, v23
	s_waitcnt lgkmcnt(0)
	v_lshrrev_b32_e32 v43, 16, v22
	v_lshrrev_b32_e32 v36, 16, v9
	;; [unrolled: 1-line block ×4, first 2 shown]
	s_movk_i32 s7, 0x3aee
	s_mov_b32 s8, 0xbaee
	s_barrier
	v_lshlrev_b32_e32 v5, 2, v5
	s_mov_b32 s6, 0xffff
	s_waitcnt vmcnt(2)
	v_mul_f16_sdwa v44, v24, v38 dst_sel:DWORD dst_unused:UNUSED_PAD src0_sel:WORD_1 src1_sel:DWORD
	v_mul_f16_sdwa v46, v25, v39 dst_sel:DWORD dst_unused:UNUSED_PAD src0_sel:WORD_1 src1_sel:DWORD
	;; [unrolled: 1-line block ×4, first 2 shown]
	s_waitcnt vmcnt(1)
	v_mul_f16_sdwa v48, v26, v40 dst_sel:DWORD dst_unused:UNUSED_PAD src0_sel:WORD_1 src1_sel:DWORD
	v_mul_f16_sdwa v49, v26, v11 dst_sel:DWORD dst_unused:UNUSED_PAD src0_sel:WORD_1 src1_sel:DWORD
	;; [unrolled: 1-line block ×4, first 2 shown]
	v_fma_f16 v10, v24, v10, -v44
	v_fma_f16 v12, v25, v12, -v46
	s_waitcnt vmcnt(0)
	v_mul_f16_sdwa v52, v28, v42 dst_sel:DWORD dst_unused:UNUSED_PAD src0_sel:WORD_1 src1_sel:DWORD
	v_mul_f16_sdwa v53, v28, v23 dst_sel:DWORD dst_unused:UNUSED_PAD src0_sel:WORD_1 src1_sel:DWORD
	;; [unrolled: 1-line block ×4, first 2 shown]
	v_fma_f16 v24, v24, v38, v45
	v_fma_f16 v25, v25, v39, v47
	v_fma_f16 v11, v26, v11, -v48
	v_fma_f16 v26, v26, v40, v49
	v_fma_f16 v13, v27, v13, -v50
	v_fma_f16 v27, v27, v41, v51
	v_add_f16_e32 v39, v10, v12
	v_fma_f16 v23, v28, v23, -v52
	v_fma_f16 v28, v28, v42, v53
	v_fma_f16 v22, v29, v22, -v54
	v_fma_f16 v29, v29, v43, v55
	v_add_f16_e32 v38, v8, v10
	v_sub_f16_e32 v40, v24, v25
	v_sub_f16_e32 v44, v26, v27
	v_add_f16_e32 v45, v36, v26
	v_add_f16_e32 v26, v26, v27
	v_fma_f16 v8, v39, -0.5, v8
	v_add_f16_e32 v41, v35, v24
	v_add_f16_e32 v24, v24, v25
	;; [unrolled: 1-line block ×3, first 2 shown]
	v_sub_f16_e32 v48, v28, v29
	v_fma_f16 v26, v26, -0.5, v36
	v_fma_f16 v36, v40, s7, v8
	v_fma_f16 v8, v40, s8, v8
	v_add_f16_e32 v40, v37, v28
	v_add_f16_e32 v28, v28, v29
	v_sub_f16_e32 v10, v10, v12
	v_add_f16_e32 v47, v23, v22
	v_fma_f16 v24, v24, -0.5, v35
	v_add_f16_e32 v35, v46, v22
	v_add_f16_e32 v40, v40, v29
	v_fma_f16 v28, v28, -0.5, v37
	v_sub_f16_e32 v22, v23, v22
	v_mov_b32_e32 v29, 2
	v_add_f16_e32 v43, v11, v13
	v_add_f16_e32 v12, v38, v12
	v_fma_f16 v38, v10, s8, v24
	v_fma_f16 v10, v10, s7, v24
	;; [unrolled: 1-line block ×4, first 2 shown]
	v_mul_u32_u24_e32 v28, 0x318, v30
	v_lshlrev_b32_sdwa v29, v29, v31 dst_sel:DWORD dst_unused:UNUSED_PAD src0_sel:DWORD src1_sel:BYTE_0
	v_add_f16_e32 v42, v9, v11
	v_sub_f16_e32 v11, v11, v13
	v_fma_f16 v9, v43, -0.5, v9
	v_add3_u32 v28, 0, v28, v29
	v_pack_b32_f16 v8, v8, v10
	v_add_f16_e32 v25, v41, v25
	v_add_f16_e32 v13, v42, v13
	;; [unrolled: 1-line block ×3, first 2 shown]
	v_fma_f16 v24, v44, s7, v9
	v_fma_f16 v39, v11, s8, v26
	ds_write_b32 v28, v8 offset:528
	v_mul_u32_u24_e32 v8, 0x318, v32
	v_fma_f16 v9, v44, s8, v9
	v_fma_f16 v11, v11, s7, v26
	v_pack_b32_f16 v12, v12, v25
	v_pack_b32_f16 v25, v36, v38
	v_add3_u32 v5, 0, v8, v5
	v_pack_b32_f16 v8, v13, v27
	v_pack_b32_f16 v10, v24, v39
	v_fma_f16 v21, v47, -0.5, v21
	ds_write2_b32 v28, v12, v25 offset1:66
	ds_write2_b32 v5, v8, v10 offset1:66
	v_pack_b32_f16 v8, v9, v11
	v_fma_f16 v26, v48, s7, v21
	ds_write_b32 v5, v8 offset:528
	v_mul_u32_u24_e32 v5, 0x318, v33
	v_lshlrev_b32_e32 v8, 2, v34
	v_fma_f16 v21, v48, s8, v21
	v_add3_u32 v5, 0, v5, v8
	v_pack_b32_f16 v8, v35, v40
	v_pack_b32_f16 v9, v26, v23
	ds_write2_b32 v5, v8, v9 offset1:66
	v_pack_b32_f16 v8, v21, v22
	ds_write_b32 v5, v8 offset:528
	s_and_saveexec_b64 s[2:3], vcc
	s_cbranch_execz .LBB0_21
; %bb.20:
	v_mul_u32_u24_sdwa v5, v4, s9 dst_sel:DWORD dst_unused:UNUSED_PAD src0_sel:WORD_0 src1_sel:DWORD
	v_lshrrev_b32_e32 v5, 22, v5
	v_mul_lo_u16_e32 v5, 0x42, v5
	v_sub_u16_e32 v5, v4, v5
	v_lshlrev_b32_e32 v8, 3, v5
	global_load_dwordx2 v[8:9], v8, s[4:5] offset:220
	v_lshl_add_u32 v5, v5, 2, 0
	v_add_u32_e32 v10, 0x1a00, v5
	s_waitcnt vmcnt(0)
	v_mul_f16_sdwa v11, v17, v9 dst_sel:DWORD dst_unused:UNUSED_PAD src0_sel:DWORD src1_sel:WORD_1
	v_mul_f16_sdwa v12, v18, v8 dst_sel:DWORD dst_unused:UNUSED_PAD src0_sel:DWORD src1_sel:WORD_1
	;; [unrolled: 1-line block ×4, first 2 shown]
	v_fma_f16 v11, v19, v9, v11
	v_fma_f16 v12, v20, v8, v12
	v_fma_f16 v8, v18, v8, -v13
	v_fma_f16 v9, v17, v9, -v21
	v_add_f16_e32 v17, v3, v8
	v_sub_f16_e32 v18, v8, v9
	v_add_f16_e32 v19, v12, v11
	v_add_f16_e32 v8, v8, v9
	v_add_f16_e32 v13, v7, v12
	v_sub_f16_e32 v12, v12, v11
	v_fma_f16 v7, v19, -0.5, v7
	v_fma_f16 v3, v8, -0.5, v3
	v_add_f16_e32 v11, v13, v11
	v_add_f16_e32 v9, v17, v9
	v_fma_f16 v8, v18, s7, v7
	v_fma_f16 v7, v18, s8, v7
	;; [unrolled: 1-line block ×4, first 2 shown]
	v_pack_b32_f16 v9, v9, v11
	v_pack_b32_f16 v3, v3, v7
	;; [unrolled: 1-line block ×3, first 2 shown]
	ds_write2_b32 v10, v9, v3 offset0:118 offset1:184
	ds_write_b32 v5, v7 offset:7656
.LBB0_21:
	s_or_b64 exec, exec, s[2:3]
	v_lshlrev_b32_e32 v8, 2, v2
	v_mov_b32_e32 v9, 0
	v_lshl_add_u64 v[10:11], v[8:9], 2, s[4:5]
	s_waitcnt lgkmcnt(0)
	s_barrier
	global_load_dwordx4 v[10:13], v[10:11], off offset:748
	v_add_u32_e32 v5, 0x900, v14
	ds_read2_b32 v[18:19], v14 offset1:198
	ds_read_b32 v3, v16
	v_add_u32_e32 v17, 0xf00, v14
	v_add_u32_e32 v7, 0x1500, v14
	ds_read_b32 v26, v14 offset:7128
	ds_read2_b32 v[20:21], v5 offset0:18 offset1:216
	ds_read2_b32 v[22:23], v17 offset0:30 offset1:228
	;; [unrolled: 1-line block ×3, first 2 shown]
	s_waitcnt lgkmcnt(4)
	v_lshrrev_b32_e32 v28, 16, v3
	s_movk_i32 s2, 0x3b9c
	s_waitcnt lgkmcnt(2)
	v_lshrrev_b32_e32 v31, 16, v21
	s_waitcnt lgkmcnt(1)
	v_lshrrev_b32_e32 v32, 16, v23
	v_lshrrev_b32_e32 v29, 16, v22
	s_waitcnt lgkmcnt(0)
	v_lshrrev_b32_e32 v33, 16, v25
	v_lshrrev_b32_e32 v30, 16, v24
	;; [unrolled: 1-line block ×4, first 2 shown]
	s_mov_b32 s8, 0xbb9c
	s_movk_i32 s3, 0x38b4
	s_mov_b32 s9, 0xb8b4
	v_lshrrev_b32_e32 v5, 16, v18
	s_movk_i32 s7, 0x34f2
	v_lshrrev_b32_e32 v7, 16, v19
	s_barrier
	s_waitcnt vmcnt(0)
	v_mul_f16_sdwa v37, v11, v31 dst_sel:DWORD dst_unused:UNUSED_PAD src0_sel:WORD_1 src1_sel:DWORD
	v_mul_f16_sdwa v39, v12, v32 dst_sel:DWORD dst_unused:UNUSED_PAD src0_sel:WORD_1 src1_sel:DWORD
	;; [unrolled: 1-line block ×8, first 2 shown]
	v_mul_f16_sdwa v45, v29, v11 dst_sel:DWORD dst_unused:UNUSED_PAD src0_sel:DWORD src1_sel:WORD_1
	v_mul_f16_sdwa v46, v22, v11 dst_sel:DWORD dst_unused:UNUSED_PAD src0_sel:DWORD src1_sel:WORD_1
	v_fma_f16 v21, v11, v21, -v37
	v_fma_f16 v23, v12, v23, -v39
	v_mul_f16_sdwa v47, v30, v12 dst_sel:DWORD dst_unused:UNUSED_PAD src0_sel:DWORD src1_sel:WORD_1
	v_mul_f16_sdwa v48, v24, v12 dst_sel:DWORD dst_unused:UNUSED_PAD src0_sel:DWORD src1_sel:WORD_1
	v_fma_f16 v3, v10, v3, -v35
	v_fma_f16 v28, v10, v28, v36
	v_fma_f16 v31, v11, v31, v38
	v_fma_f16 v25, v13, v25, -v41
	v_fma_f16 v33, v13, v33, v42
	v_fma_f16 v22, v22, v11, -v45
	v_fma_f16 v11, v29, v11, v46
	v_add_f16_e32 v29, v21, v23
	v_mul_f16_sdwa v43, v10, v34 dst_sel:DWORD dst_unused:UNUSED_PAD src0_sel:WORD_1 src1_sel:DWORD
	v_mul_f16_sdwa v44, v10, v20 dst_sel:DWORD dst_unused:UNUSED_PAD src0_sel:WORD_1 src1_sel:DWORD
	v_mul_f16_sdwa v49, v27, v13 dst_sel:DWORD dst_unused:UNUSED_PAD src0_sel:DWORD src1_sel:WORD_1
	v_mul_f16_sdwa v50, v26, v13 dst_sel:DWORD dst_unused:UNUSED_PAD src0_sel:DWORD src1_sel:WORD_1
	v_fma_f16 v32, v12, v32, v40
	v_fma_f16 v24, v24, v12, -v47
	v_fma_f16 v12, v30, v12, v48
	v_sub_f16_e32 v30, v28, v33
	v_add_f16_e32 v37, v3, v25
	v_fma_f16 v29, v29, -0.5, v18
	v_fma_f16 v20, v10, v20, -v43
	v_fma_f16 v10, v10, v34, v44
	v_fma_f16 v26, v26, v13, -v49
	v_fma_f16 v13, v27, v13, v50
	v_add_f16_e32 v27, v18, v3
	v_sub_f16_e32 v34, v31, v32
	v_sub_f16_e32 v35, v3, v21
	;; [unrolled: 1-line block ×3, first 2 shown]
	v_fma_f16 v18, v37, -0.5, v18
	v_fma_f16 v37, v30, s2, v29
	v_fma_f16 v29, v30, s8, v29
	v_add_f16_e32 v35, v35, v36
	v_fma_f16 v37, v34, s3, v37
	v_fma_f16 v29, v34, s9, v29
	v_sub_f16_e32 v38, v21, v3
	v_sub_f16_e32 v39, v23, v25
	v_add_f16_e32 v27, v27, v21
	v_fma_f16 v37, v35, s7, v37
	v_fma_f16 v29, v35, s7, v29
	v_add_f16_e32 v35, v31, v32
	v_add_f16_e32 v36, v38, v39
	;; [unrolled: 1-line block ×3, first 2 shown]
	v_fma_f16 v38, v34, s8, v18
	v_fma_f16 v18, v34, s2, v18
	v_fma_f16 v35, v35, -0.5, v5
	v_sub_f16_e32 v3, v3, v25
	v_add_f16_e32 v27, v27, v25
	v_fma_f16 v34, v30, s3, v38
	v_fma_f16 v18, v30, s9, v18
	;; [unrolled: 1-line block ×3, first 2 shown]
	v_sub_f16_e32 v21, v21, v23
	v_fma_f16 v34, v36, s7, v34
	v_fma_f16 v18, v36, s7, v18
	;; [unrolled: 1-line block ×3, first 2 shown]
	v_sub_f16_e32 v25, v28, v31
	v_sub_f16_e32 v36, v33, v32
	v_fma_f16 v35, v3, s2, v35
	v_add_f16_e32 v25, v25, v36
	v_fma_f16 v35, v21, s3, v35
	v_fma_f16 v23, v25, s7, v23
	;; [unrolled: 1-line block ×3, first 2 shown]
	v_add_f16_e32 v35, v28, v33
	v_add_f16_e32 v30, v5, v28
	v_fma_f16 v5, v35, -0.5, v5
	v_add_f16_e32 v30, v30, v31
	v_fma_f16 v35, v21, s2, v5
	v_sub_f16_e32 v28, v31, v28
	v_sub_f16_e32 v31, v32, v33
	v_fma_f16 v5, v21, s8, v5
	v_fma_f16 v35, v3, s9, v35
	v_add_f16_e32 v28, v28, v31
	v_fma_f16 v3, v3, s3, v5
	v_add_f16_e32 v21, v22, v24
	v_add_f16_e32 v30, v30, v32
	v_fma_f16 v31, v28, s7, v35
	v_fma_f16 v3, v28, s7, v3
	v_fma_f16 v21, v21, -0.5, v19
	v_sub_f16_e32 v28, v10, v13
	v_add_f16_e32 v30, v30, v33
	v_fma_f16 v32, v28, s2, v21
	v_sub_f16_e32 v33, v11, v12
	v_sub_f16_e32 v35, v20, v22
	;; [unrolled: 1-line block ×3, first 2 shown]
	v_fma_f16 v21, v28, s8, v21
	v_fma_f16 v32, v33, s3, v32
	v_add_f16_e32 v35, v35, v36
	v_fma_f16 v21, v33, s9, v21
	v_fma_f16 v32, v35, s7, v32
	;; [unrolled: 1-line block ×3, first 2 shown]
	v_add_f16_e32 v35, v20, v26
	v_add_f16_e32 v5, v19, v20
	v_fma_f16 v19, v35, -0.5, v19
	v_add_f16_e32 v5, v5, v22
	v_fma_f16 v35, v33, s8, v19
	v_fma_f16 v19, v33, s2, v19
	v_add_f16_e32 v33, v11, v12
	v_add_f16_e32 v5, v5, v24
	v_sub_f16_e32 v36, v22, v20
	v_sub_f16_e32 v38, v24, v26
	v_fma_f16 v33, v33, -0.5, v7
	v_sub_f16_e32 v20, v20, v26
	v_add_f16_e32 v5, v5, v26
	v_fma_f16 v35, v28, s3, v35
	v_add_f16_e32 v36, v36, v38
	v_fma_f16 v19, v28, s9, v19
	v_fma_f16 v26, v20, s8, v33
	v_sub_f16_e32 v22, v22, v24
	v_fma_f16 v35, v36, s7, v35
	v_fma_f16 v19, v36, s7, v19
	;; [unrolled: 1-line block ×3, first 2 shown]
	v_sub_f16_e32 v26, v10, v11
	v_sub_f16_e32 v36, v13, v12
	v_fma_f16 v33, v20, s2, v33
	v_add_f16_e32 v26, v26, v36
	v_fma_f16 v33, v22, s3, v33
	v_fma_f16 v24, v26, s7, v24
	;; [unrolled: 1-line block ×3, first 2 shown]
	v_add_f16_e32 v33, v10, v13
	v_add_f16_e32 v28, v7, v10
	v_fma_f16 v7, v33, -0.5, v7
	v_add_f16_e32 v28, v28, v11
	v_fma_f16 v33, v22, s2, v7
	v_sub_f16_e32 v10, v11, v10
	v_sub_f16_e32 v11, v12, v13
	v_fma_f16 v7, v22, s8, v7
	v_fma_f16 v33, v20, s9, v33
	v_add_f16_e32 v10, v10, v11
	v_fma_f16 v7, v20, s3, v7
	v_add_f16_e32 v28, v28, v12
	v_fma_f16 v11, v10, s7, v33
	v_fma_f16 v7, v10, s7, v7
	v_pack_b32_f16 v10, v27, v30
	v_pack_b32_f16 v12, v37, v23
	v_add_f16_e32 v28, v28, v13
	ds_write2_b32 v14, v10, v12 offset1:198
	v_pack_b32_f16 v10, v34, v31
	v_pack_b32_f16 v3, v18, v3
	v_add_u32_e32 v12, 0x600, v14
	ds_write2_b32 v12, v10, v3 offset0:12 offset1:210
	v_pack_b32_f16 v3, v29, v25
	v_pack_b32_f16 v5, v5, v28
	v_add_u32_e32 v18, 0xc00, v14
	ds_write2_b32 v18, v3, v5 offset0:24 offset1:222
	;; [unrolled: 4-line block ×4, first 2 shown]
	v_mov_b32_e32 v3, v9
	v_lshl_add_u64 v[10:11], v[2:3], 2, s[4:5]
	s_movk_i32 s2, 0x1000
	s_waitcnt lgkmcnt(0)
	s_barrier
	global_load_dword v22, v[10:11], off offset:3916
	v_add_co_u32_e32 v10, vcc, s2, v10
	v_mov_b32_e32 v7, v9
	s_nop 0
	v_addc_co_u32_e32 v11, vcc, 0, v11, vcc
	global_load_dword v23, v[10:11], off offset:612
	v_lshl_add_u64 v[12:13], v[6:7], 2, s[4:5]
	global_load_dword v24, v[12:13], off offset:3916
	v_mov_b32_e32 v5, v9
	v_lshl_add_u64 v[12:13], v[4:5], 2, s[4:5]
	global_load_dword v9, v[10:11], off offset:2988
	global_load_dword v25, v[12:13], off offset:3916
	ds_read2_b32 v[10:11], v14 offset1:198
	ds_read2_b32 v[12:13], v18 offset0:24 offset1:222
	ds_read2_b32 v[18:19], v20 offset0:36 offset1:234
	ds_read_b32 v26, v16
	ds_read_b32 v27, v15
	ds_read2_b32 v[20:21], v21 offset0:48 offset1:246
	s_waitcnt lgkmcnt(0)
	s_barrier
	s_add_u32 s2, s4, 0x1ec4
	s_addc_u32 s3, s5, 0
	v_cmp_ne_u32_e32 vcc, 0, v2
	s_waitcnt vmcnt(4)
	v_pk_mul_f16 v28, v22, v13 op_sel:[0,1]
	s_nop 0
	v_pk_fma_f16 v29, v22, v13, v28 op_sel:[0,0,1] op_sel_hi:[1,1,0] neg_lo:[0,0,1] neg_hi:[0,0,1]
	v_pk_fma_f16 v13, v22, v13, v28 op_sel:[0,0,1] op_sel_hi:[1,0,0]
	s_waitcnt vmcnt(3)
	v_pk_mul_f16 v22, v23, v18 op_sel:[0,1]
	s_nop 0
	v_pk_fma_f16 v28, v23, v18, v22 op_sel:[0,0,1] op_sel_hi:[1,1,0] neg_lo:[0,0,1] neg_hi:[0,0,1]
	v_pk_fma_f16 v18, v23, v18, v22 op_sel:[0,0,1] op_sel_hi:[1,0,0]
	s_waitcnt vmcnt(2)
	v_pk_mul_f16 v22, v24, v19 op_sel:[0,1]
	v_bfi_b32 v13, s6, v29, v13
	v_pk_fma_f16 v23, v24, v19, v22 op_sel:[0,0,1] op_sel_hi:[1,1,0] neg_lo:[0,0,1] neg_hi:[0,0,1]
	v_pk_fma_f16 v19, v24, v19, v22 op_sel:[0,0,1] op_sel_hi:[1,0,0]
	v_bfi_b32 v18, s6, v28, v18
	v_bfi_b32 v19, s6, v23, v19
	s_waitcnt vmcnt(0)
	v_pk_mul_f16 v23, v25, v20 op_sel:[0,1]
	v_pk_add_f16 v13, v10, v13 neg_lo:[0,1] neg_hi:[0,1]
	v_pk_fma_f16 v24, v25, v20, v23 op_sel:[0,0,1] op_sel_hi:[1,1,0] neg_lo:[0,0,1] neg_hi:[0,0,1]
	v_pk_fma_f16 v20, v25, v20, v23 op_sel:[0,0,1] op_sel_hi:[1,0,0]
	v_pk_add_f16 v18, v11, v18 neg_lo:[0,1] neg_hi:[0,1]
	v_bfi_b32 v20, s6, v24, v20
	v_pk_mul_f16 v24, v9, v21 op_sel:[0,1]
	v_pk_fma_f16 v10, v10, 2.0, v13 op_sel_hi:[1,0,1] neg_lo:[0,0,1] neg_hi:[0,0,1]
	v_pk_fma_f16 v25, v9, v21, v24 op_sel:[0,0,1] op_sel_hi:[1,1,0] neg_lo:[0,0,1] neg_hi:[0,0,1]
	v_pk_fma_f16 v9, v9, v21, v24 op_sel:[0,0,1] op_sel_hi:[1,0,0]
	v_pk_fma_f16 v11, v11, 2.0, v18 op_sel_hi:[1,0,1] neg_lo:[0,0,1] neg_hi:[0,0,1]
	v_bfi_b32 v9, s6, v25, v9
	v_pk_add_f16 v19, v26, v19 neg_lo:[0,1] neg_hi:[0,1]
	v_pk_add_f16 v20, v27, v20 neg_lo:[0,1] neg_hi:[0,1]
	;; [unrolled: 1-line block ×3, first 2 shown]
	v_pk_fma_f16 v22, v26, 2.0, v19 op_sel_hi:[1,0,1] neg_lo:[0,0,1] neg_hi:[0,0,1]
	v_pk_fma_f16 v23, v27, 2.0, v20 op_sel_hi:[1,0,1] neg_lo:[0,0,1] neg_hi:[0,0,1]
	;; [unrolled: 1-line block ×3, first 2 shown]
	ds_write2_b32 v14, v10, v11 offset1:198
	ds_write2_b32 v17, v13, v18 offset0:30 offset1:228
	ds_write_b32 v16, v22
	ds_write_b32 v16, v19 offset:3960
	ds_write_b32 v15, v23
	ds_write_b32 v15, v20 offset:3960
	ds_write_b32 v14, v12 offset:3168
	;; [unrolled: 1-line block ×3, first 2 shown]
	s_waitcnt lgkmcnt(0)
	s_barrier
	ds_read_b32 v17, v14
	v_sub_u32_e32 v10, 0, v8
	v_lshl_add_u64 v[8:9], v[2:3], 2, s[2:3]
                                        ; implicit-def: $vgpr13
                                        ; implicit-def: $vgpr11
                                        ; implicit-def: $vgpr12
	s_and_saveexec_b64 s[4:5], vcc
	s_xor_b64 s[4:5], exec, s[4:5]
	s_cbranch_execz .LBB0_23
; %bb.22:
	global_load_dword v11, v[8:9], off
	ds_read_b32 v12, v10 offset:7920
	s_waitcnt lgkmcnt(0)
	v_pk_add_f16 v13, v17, v12 neg_lo:[0,1] neg_hi:[0,1]
	v_pk_add_f16 v12, v12, v17
	s_nop 0
	v_bfi_b32 v17, s6, v13, v12
	v_bfi_b32 v12, s6, v12, v13
	v_pk_mul_f16 v13, v17, 0.5 op_sel_hi:[1,0]
	v_pk_mul_f16 v17, v12, 0.5 op_sel_hi:[1,0]
	s_waitcnt vmcnt(0)
	v_pk_mul_f16 v18, v11, v13 op_sel:[1,0]
	v_pk_mul_f16 v19, v11, v13 op_sel_hi:[0,1]
	v_pk_fma_f16 v11, v12, 0.5, v18 op_sel_hi:[1,0,1]
	v_sub_f16_e32 v12, v17, v18
	v_sub_f16_sdwa v17, v18, v17 dst_sel:DWORD dst_unused:UNUSED_PAD src0_sel:WORD_1 src1_sel:WORD_1
	v_pk_add_f16 v13, v11, v19 op_sel:[0,1] op_sel_hi:[1,0]
	v_pk_add_f16 v18, v11, v19 op_sel:[0,1] op_sel_hi:[1,0] neg_lo:[0,1] neg_hi:[0,1]
	v_sub_f16_sdwa v11, v12, v19 dst_sel:DWORD dst_unused:UNUSED_PAD src0_sel:DWORD src1_sel:WORD_1
	v_bfi_b32 v13, s6, v13, v18
	v_sub_f16_e32 v12, v17, v19
                                        ; implicit-def: $vgpr17
.LBB0_23:
	s_andn2_saveexec_b64 s[4:5], s[4:5]
	s_cbranch_execz .LBB0_25
; %bb.24:
	v_mov_b32_e32 v12, 0
	ds_read_u16 v13, v12 offset:3962
	s_waitcnt lgkmcnt(1)
	v_alignbit_b32 v18, s0, v17, 16
	v_sub_f16_sdwa v11, v17, v17 dst_sel:DWORD dst_unused:UNUSED_PAD src0_sel:DWORD src1_sel:WORD_1
	v_pk_add_f16 v17, v18, v17
	s_waitcnt lgkmcnt(0)
	v_xor_b32_e32 v13, 0x8000, v13
	ds_write_b16 v12, v13 offset:3962
	v_pack_b32_f16 v13, v17, 0
.LBB0_25:
	s_or_b64 exec, exec, s[4:5]
	s_waitcnt lgkmcnt(0)
	global_load_dword v17, v[8:9], off offset:792
	v_lshl_add_u64 v[6:7], v[6:7], 2, s[2:3]
	global_load_dword v6, v[6:7], off
	v_lshl_add_u64 v[4:5], v[4:5], 2, s[2:3]
	global_load_dword v7, v[8:9], off offset:3168
	global_load_dword v18, v[4:5], off
	ds_write_b16 v10, v12 offset:7922
	ds_write_b32 v14, v13
	ds_write_b16 v10, v11 offset:7920
	ds_read_b32 v4, v14 offset:792
	ds_read_b32 v5, v10 offset:7128
	s_mov_b32 s2, 0xffff
	s_waitcnt lgkmcnt(0)
	v_pk_add_f16 v8, v4, v5 neg_lo:[0,1] neg_hi:[0,1]
	v_pk_add_f16 v4, v4, v5
	s_nop 0
	v_bfi_b32 v5, s2, v8, v4
	v_bfi_b32 v4, s2, v4, v8
	v_pk_mul_f16 v5, v5, 0.5 op_sel_hi:[1,0]
	v_pk_mul_f16 v8, v4, 0.5 op_sel_hi:[1,0]
	s_waitcnt vmcnt(3)
	v_pk_mul_f16 v9, v17, v5 op_sel:[1,0]
	v_pk_mul_f16 v5, v17, v5 op_sel_hi:[0,1]
	v_pk_fma_f16 v4, v4, 0.5, v9 op_sel_hi:[1,0,1]
	v_sub_f16_e32 v11, v8, v9
	v_sub_f16_sdwa v8, v9, v8 dst_sel:DWORD dst_unused:UNUSED_PAD src0_sel:WORD_1 src1_sel:WORD_1
	v_pk_add_f16 v9, v4, v5 op_sel:[0,1] op_sel_hi:[1,0]
	v_pk_add_f16 v4, v4, v5 op_sel:[0,1] op_sel_hi:[1,0] neg_lo:[0,1] neg_hi:[0,1]
	v_sub_f16_sdwa v11, v11, v5 dst_sel:DWORD dst_unused:UNUSED_PAD src0_sel:DWORD src1_sel:WORD_1
	v_sub_f16_e32 v5, v8, v5
	v_bfi_b32 v4, s2, v9, v4
	ds_write_b16 v10, v5 offset:7130
	ds_write_b32 v14, v4 offset:792
	ds_write_b16 v10, v11 offset:7128
	ds_read_b32 v4, v16
	ds_read_b32 v5, v10 offset:6336
	s_waitcnt lgkmcnt(0)
	v_pk_add_f16 v8, v4, v5 neg_lo:[0,1] neg_hi:[0,1]
	v_pk_add_f16 v4, v4, v5
	s_nop 0
	v_bfi_b32 v5, s2, v8, v4
	v_bfi_b32 v4, s2, v4, v8
	v_pk_mul_f16 v5, v5, 0.5 op_sel_hi:[1,0]
	v_pk_mul_f16 v8, v4, 0.5 op_sel_hi:[1,0]
	s_waitcnt vmcnt(2)
	v_pk_mul_f16 v9, v6, v5 op_sel:[1,0]
	v_pk_mul_f16 v5, v6, v5 op_sel_hi:[0,1]
	v_pk_fma_f16 v4, v4, 0.5, v9 op_sel_hi:[1,0,1]
	v_sub_f16_e32 v6, v8, v9
	v_sub_f16_sdwa v8, v9, v8 dst_sel:DWORD dst_unused:UNUSED_PAD src0_sel:WORD_1 src1_sel:WORD_1
	v_pk_add_f16 v9, v4, v5 op_sel:[0,1] op_sel_hi:[1,0]
	v_pk_add_f16 v4, v4, v5 op_sel:[0,1] op_sel_hi:[1,0] neg_lo:[0,1] neg_hi:[0,1]
	v_sub_f16_sdwa v6, v6, v5 dst_sel:DWORD dst_unused:UNUSED_PAD src0_sel:DWORD src1_sel:WORD_1
	v_sub_f16_e32 v5, v8, v5
	v_bfi_b32 v4, s2, v9, v4
	ds_write_b16 v10, v5 offset:6338
	ds_write_b32 v16, v4
	ds_write_b16 v10, v6 offset:6336
	ds_read_b32 v4, v15
	ds_read_b32 v5, v10 offset:5544
	s_waitcnt lgkmcnt(0)
	v_pk_add_f16 v6, v4, v5 neg_lo:[0,1] neg_hi:[0,1]
	v_pk_add_f16 v4, v4, v5
	s_nop 0
	v_bfi_b32 v5, s2, v6, v4
	v_bfi_b32 v4, s2, v4, v6
	v_pk_mul_f16 v5, v5, 0.5 op_sel_hi:[1,0]
	v_pk_mul_f16 v6, v4, 0.5 op_sel_hi:[1,0]
	s_waitcnt vmcnt(0)
	v_pk_mul_f16 v8, v18, v5 op_sel:[1,0]
	v_pk_mul_f16 v5, v18, v5 op_sel_hi:[0,1]
	v_pk_fma_f16 v4, v4, 0.5, v8 op_sel_hi:[1,0,1]
	v_sub_f16_e32 v9, v6, v8
	v_sub_f16_sdwa v6, v8, v6 dst_sel:DWORD dst_unused:UNUSED_PAD src0_sel:WORD_1 src1_sel:WORD_1
	v_pk_add_f16 v8, v4, v5 op_sel:[0,1] op_sel_hi:[1,0]
	v_pk_add_f16 v4, v4, v5 op_sel:[0,1] op_sel_hi:[1,0] neg_lo:[0,1] neg_hi:[0,1]
	v_sub_f16_sdwa v9, v9, v5 dst_sel:DWORD dst_unused:UNUSED_PAD src0_sel:DWORD src1_sel:WORD_1
	v_sub_f16_e32 v5, v6, v5
	v_bfi_b32 v4, s2, v8, v4
	ds_write_b16 v10, v5 offset:5546
	ds_write_b32 v15, v4
	ds_write_b16 v10, v9 offset:5544
	ds_read_b32 v4, v14 offset:3168
	ds_read_b32 v5, v10 offset:4752
	s_waitcnt lgkmcnt(0)
	v_pk_add_f16 v6, v4, v5 neg_lo:[0,1] neg_hi:[0,1]
	v_pk_add_f16 v4, v4, v5
	s_nop 0
	v_bfi_b32 v5, s2, v6, v4
	v_bfi_b32 v4, s2, v4, v6
	v_pk_mul_f16 v5, v5, 0.5 op_sel_hi:[1,0]
	v_pk_mul_f16 v4, v4, 0.5 op_sel_hi:[1,0]
	v_pk_mul_f16 v8, v7, v5 op_sel_hi:[0,1]
	v_pk_fma_f16 v6, v7, v5, v4 op_sel:[1,0,0]
	v_pk_fma_f16 v9, v7, v5, v4 op_sel:[1,0,0] neg_lo:[1,0,0] neg_hi:[1,0,0]
	v_pk_fma_f16 v4, v7, v5, v4 op_sel:[1,0,0] neg_lo:[0,0,1] neg_hi:[0,0,1]
	v_pk_add_f16 v5, v6, v8 op_sel:[0,1] op_sel_hi:[1,0]
	v_pk_add_f16 v6, v6, v8 op_sel:[0,1] op_sel_hi:[1,0] neg_lo:[0,1] neg_hi:[0,1]
	v_pk_add_f16 v7, v9, v8 op_sel:[0,1] op_sel_hi:[1,0] neg_lo:[0,1] neg_hi:[0,1]
	;; [unrolled: 1-line block ×3, first 2 shown]
	v_bfi_b32 v5, s2, v5, v6
	v_bfi_b32 v4, s2, v7, v4
	ds_write_b32 v14, v5 offset:3168
	ds_write_b32 v10, v4 offset:4752
	s_waitcnt lgkmcnt(0)
	s_barrier
	s_and_saveexec_b64 s[2:3], s[0:1]
	s_cbranch_execz .LBB0_28
; %bb.26:
	ds_read2_b32 v[4:5], v14 offset1:198
	v_lshl_add_u64 v[6:7], v[2:3], 2, v[0:1]
	v_add_u32_e32 v3, 0x600, v14
	ds_read2_b32 v[8:9], v3 offset0:12 offset1:210
	v_add_u32_e32 v3, 0xc00, v14
	ds_read2_b32 v[10:11], v3 offset0:24 offset1:222
	s_waitcnt lgkmcnt(2)
	global_store_dword v[6:7], v4, off
	global_store_dword v[6:7], v5, off offset:792
	s_waitcnt lgkmcnt(1)
	global_store_dword v[6:7], v8, off offset:1584
	global_store_dword v[6:7], v9, off offset:2376
	s_waitcnt lgkmcnt(0)
	global_store_dword v[6:7], v10, off offset:3168
	global_store_dword v[6:7], v11, off offset:3960
	v_add_u32_e32 v3, 0x1200, v14
	ds_read2_b32 v[4:5], v3 offset0:36 offset1:234
	v_add_u32_e32 v3, 0x1800, v14
	v_add_co_u32_e32 v6, vcc, 0x1000, v6
	ds_read2_b32 v[8:9], v3 offset0:48 offset1:246
	s_nop 0
	v_addc_co_u32_e32 v7, vcc, 0, v7, vcc
	s_movk_i32 s0, 0xc5
	v_cmp_eq_u32_e32 vcc, s0, v2
	s_waitcnt lgkmcnt(1)
	global_store_dword v[6:7], v4, off offset:656
	global_store_dword v[6:7], v5, off offset:1448
	s_waitcnt lgkmcnt(0)
	global_store_dword v[6:7], v8, off offset:2240
	global_store_dword v[6:7], v9, off offset:3032
	s_and_b64 exec, exec, vcc
	s_cbranch_execz .LBB0_28
; %bb.27:
	v_mov_b32_e32 v2, 0
	ds_read_b32 v2, v2 offset:7920
	v_add_co_u32_e32 v0, vcc, 0x1000, v0
	s_nop 1
	v_addc_co_u32_e32 v1, vcc, 0, v1, vcc
	s_waitcnt lgkmcnt(0)
	global_store_dword v[0:1], v2, off offset:3824
.LBB0_28:
	s_endpgm
	.section	.rodata,"a",@progbits
	.p2align	6, 0x0
	.amdhsa_kernel fft_rtc_fwd_len1980_factors_11_2_3_3_5_2_wgs_198_tpt_198_halfLds_half_ip_CI_unitstride_sbrr_R2C_dirReg
		.amdhsa_group_segment_fixed_size 0
		.amdhsa_private_segment_fixed_size 0
		.amdhsa_kernarg_size 88
		.amdhsa_user_sgpr_count 2
		.amdhsa_user_sgpr_dispatch_ptr 0
		.amdhsa_user_sgpr_queue_ptr 0
		.amdhsa_user_sgpr_kernarg_segment_ptr 1
		.amdhsa_user_sgpr_dispatch_id 0
		.amdhsa_user_sgpr_kernarg_preload_length 0
		.amdhsa_user_sgpr_kernarg_preload_offset 0
		.amdhsa_user_sgpr_private_segment_size 0
		.amdhsa_uses_dynamic_stack 0
		.amdhsa_enable_private_segment 0
		.amdhsa_system_sgpr_workgroup_id_x 1
		.amdhsa_system_sgpr_workgroup_id_y 0
		.amdhsa_system_sgpr_workgroup_id_z 0
		.amdhsa_system_sgpr_workgroup_info 0
		.amdhsa_system_vgpr_workitem_id 0
		.amdhsa_next_free_vgpr 91
		.amdhsa_next_free_sgpr 22
		.amdhsa_accum_offset 92
		.amdhsa_reserve_vcc 1
		.amdhsa_float_round_mode_32 0
		.amdhsa_float_round_mode_16_64 0
		.amdhsa_float_denorm_mode_32 3
		.amdhsa_float_denorm_mode_16_64 3
		.amdhsa_dx10_clamp 1
		.amdhsa_ieee_mode 1
		.amdhsa_fp16_overflow 0
		.amdhsa_tg_split 0
		.amdhsa_exception_fp_ieee_invalid_op 0
		.amdhsa_exception_fp_denorm_src 0
		.amdhsa_exception_fp_ieee_div_zero 0
		.amdhsa_exception_fp_ieee_overflow 0
		.amdhsa_exception_fp_ieee_underflow 0
		.amdhsa_exception_fp_ieee_inexact 0
		.amdhsa_exception_int_div_zero 0
	.end_amdhsa_kernel
	.text
.Lfunc_end0:
	.size	fft_rtc_fwd_len1980_factors_11_2_3_3_5_2_wgs_198_tpt_198_halfLds_half_ip_CI_unitstride_sbrr_R2C_dirReg, .Lfunc_end0-fft_rtc_fwd_len1980_factors_11_2_3_3_5_2_wgs_198_tpt_198_halfLds_half_ip_CI_unitstride_sbrr_R2C_dirReg
                                        ; -- End function
	.section	.AMDGPU.csdata,"",@progbits
; Kernel info:
; codeLenInByte = 9932
; NumSgprs: 28
; NumVgprs: 91
; NumAgprs: 0
; TotalNumVgprs: 91
; ScratchSize: 0
; MemoryBound: 0
; FloatMode: 240
; IeeeMode: 1
; LDSByteSize: 0 bytes/workgroup (compile time only)
; SGPRBlocks: 3
; VGPRBlocks: 11
; NumSGPRsForWavesPerEU: 28
; NumVGPRsForWavesPerEU: 91
; AccumOffset: 92
; Occupancy: 5
; WaveLimiterHint : 1
; COMPUTE_PGM_RSRC2:SCRATCH_EN: 0
; COMPUTE_PGM_RSRC2:USER_SGPR: 2
; COMPUTE_PGM_RSRC2:TRAP_HANDLER: 0
; COMPUTE_PGM_RSRC2:TGID_X_EN: 1
; COMPUTE_PGM_RSRC2:TGID_Y_EN: 0
; COMPUTE_PGM_RSRC2:TGID_Z_EN: 0
; COMPUTE_PGM_RSRC2:TIDIG_COMP_CNT: 0
; COMPUTE_PGM_RSRC3_GFX90A:ACCUM_OFFSET: 22
; COMPUTE_PGM_RSRC3_GFX90A:TG_SPLIT: 0
	.text
	.p2alignl 6, 3212836864
	.fill 256, 4, 3212836864
	.type	__hip_cuid_f21e927bec0b3c65,@object ; @__hip_cuid_f21e927bec0b3c65
	.section	.bss,"aw",@nobits
	.globl	__hip_cuid_f21e927bec0b3c65
__hip_cuid_f21e927bec0b3c65:
	.byte	0                               ; 0x0
	.size	__hip_cuid_f21e927bec0b3c65, 1

	.ident	"AMD clang version 19.0.0git (https://github.com/RadeonOpenCompute/llvm-project roc-6.4.0 25133 c7fe45cf4b819c5991fe208aaa96edf142730f1d)"
	.section	".note.GNU-stack","",@progbits
	.addrsig
	.addrsig_sym __hip_cuid_f21e927bec0b3c65
	.amdgpu_metadata
---
amdhsa.kernels:
  - .agpr_count:     0
    .args:
      - .actual_access:  read_only
        .address_space:  global
        .offset:         0
        .size:           8
        .value_kind:     global_buffer
      - .offset:         8
        .size:           8
        .value_kind:     by_value
      - .actual_access:  read_only
        .address_space:  global
        .offset:         16
        .size:           8
        .value_kind:     global_buffer
      - .actual_access:  read_only
        .address_space:  global
        .offset:         24
        .size:           8
        .value_kind:     global_buffer
      - .offset:         32
        .size:           8
        .value_kind:     by_value
      - .actual_access:  read_only
        .address_space:  global
        .offset:         40
        .size:           8
        .value_kind:     global_buffer
      - .actual_access:  read_only
        .address_space:  global
        .offset:         48
        .size:           8
        .value_kind:     global_buffer
      - .offset:         56
        .size:           4
        .value_kind:     by_value
      - .actual_access:  read_only
        .address_space:  global
        .offset:         64
        .size:           8
        .value_kind:     global_buffer
      - .actual_access:  read_only
        .address_space:  global
        .offset:         72
        .size:           8
        .value_kind:     global_buffer
      - .address_space:  global
        .offset:         80
        .size:           8
        .value_kind:     global_buffer
    .group_segment_fixed_size: 0
    .kernarg_segment_align: 8
    .kernarg_segment_size: 88
    .language:       OpenCL C
    .language_version:
      - 2
      - 0
    .max_flat_workgroup_size: 198
    .name:           fft_rtc_fwd_len1980_factors_11_2_3_3_5_2_wgs_198_tpt_198_halfLds_half_ip_CI_unitstride_sbrr_R2C_dirReg
    .private_segment_fixed_size: 0
    .sgpr_count:     28
    .sgpr_spill_count: 0
    .symbol:         fft_rtc_fwd_len1980_factors_11_2_3_3_5_2_wgs_198_tpt_198_halfLds_half_ip_CI_unitstride_sbrr_R2C_dirReg.kd
    .uniform_work_group_size: 1
    .uses_dynamic_stack: false
    .vgpr_count:     91
    .vgpr_spill_count: 0
    .wavefront_size: 64
amdhsa.target:   amdgcn-amd-amdhsa--gfx950
amdhsa.version:
  - 1
  - 2
...

	.end_amdgpu_metadata
